;; amdgpu-corpus repo=ROCm/rocFFT kind=compiled arch=gfx906 opt=O3
	.text
	.amdgcn_target "amdgcn-amd-amdhsa--gfx906"
	.amdhsa_code_object_version 6
	.protected	fft_rtc_back_len1701_factors_3_3_3_3_3_7_wgs_63_tpt_63_halfLds_sp_op_CI_CI_unitstride_sbrr_dirReg ; -- Begin function fft_rtc_back_len1701_factors_3_3_3_3_3_7_wgs_63_tpt_63_halfLds_sp_op_CI_CI_unitstride_sbrr_dirReg
	.globl	fft_rtc_back_len1701_factors_3_3_3_3_3_7_wgs_63_tpt_63_halfLds_sp_op_CI_CI_unitstride_sbrr_dirReg
	.p2align	8
	.type	fft_rtc_back_len1701_factors_3_3_3_3_3_7_wgs_63_tpt_63_halfLds_sp_op_CI_CI_unitstride_sbrr_dirReg,@function
fft_rtc_back_len1701_factors_3_3_3_3_3_7_wgs_63_tpt_63_halfLds_sp_op_CI_CI_unitstride_sbrr_dirReg: ; @fft_rtc_back_len1701_factors_3_3_3_3_3_7_wgs_63_tpt_63_halfLds_sp_op_CI_CI_unitstride_sbrr_dirReg
; %bb.0:
	s_load_dwordx4 s[12:15], s[4:5], 0x58
	s_load_dwordx4 s[8:11], s[4:5], 0x0
	;; [unrolled: 1-line block ×3, first 2 shown]
	v_mul_u32_u24_e32 v1, 0x411, v0
	v_mov_b32_e32 v5, 0
	v_mov_b32_e32 v9, 0
	s_waitcnt lgkmcnt(0)
	v_cmp_lt_u64_e64 s[0:1], s[10:11], 2
	v_add_u32_sdwa v7, s6, v1 dst_sel:DWORD dst_unused:UNUSED_PAD src0_sel:DWORD src1_sel:WORD_1
	v_mov_b32_e32 v8, v5
	s_and_b64 vcc, exec, s[0:1]
	v_mov_b32_e32 v10, 0
	s_cbranch_vccnz .LBB0_8
; %bb.1:
	s_load_dwordx2 s[0:1], s[4:5], 0x10
	s_add_u32 s2, s18, 8
	s_addc_u32 s3, s19, 0
	s_add_u32 s6, s16, 8
	s_addc_u32 s7, s17, 0
	v_mov_b32_e32 v9, 0
	s_waitcnt lgkmcnt(0)
	s_add_u32 s20, s0, 8
	v_mov_b32_e32 v10, 0
	v_mov_b32_e32 v1, v9
	s_addc_u32 s21, s1, 0
	s_mov_b64 s[22:23], 1
	v_mov_b32_e32 v2, v10
.LBB0_2:                                ; =>This Inner Loop Header: Depth=1
	s_load_dwordx2 s[24:25], s[20:21], 0x0
                                        ; implicit-def: $vgpr3_vgpr4
	s_waitcnt lgkmcnt(0)
	v_or_b32_e32 v6, s25, v8
	v_cmp_ne_u64_e32 vcc, 0, v[5:6]
	s_and_saveexec_b64 s[0:1], vcc
	s_xor_b64 s[26:27], exec, s[0:1]
	s_cbranch_execz .LBB0_4
; %bb.3:                                ;   in Loop: Header=BB0_2 Depth=1
	v_cvt_f32_u32_e32 v3, s24
	v_cvt_f32_u32_e32 v4, s25
	s_sub_u32 s0, 0, s24
	s_subb_u32 s1, 0, s25
	v_mac_f32_e32 v3, 0x4f800000, v4
	v_rcp_f32_e32 v3, v3
	v_mul_f32_e32 v3, 0x5f7ffffc, v3
	v_mul_f32_e32 v4, 0x2f800000, v3
	v_trunc_f32_e32 v4, v4
	v_mac_f32_e32 v3, 0xcf800000, v4
	v_cvt_u32_f32_e32 v4, v4
	v_cvt_u32_f32_e32 v3, v3
	v_mul_lo_u32 v6, s0, v4
	v_mul_hi_u32 v11, s0, v3
	v_mul_lo_u32 v13, s1, v3
	v_mul_lo_u32 v12, s0, v3
	v_add_u32_e32 v6, v11, v6
	v_add_u32_e32 v6, v6, v13
	v_mul_hi_u32 v11, v3, v12
	v_mul_lo_u32 v13, v3, v6
	v_mul_hi_u32 v15, v3, v6
	v_mul_hi_u32 v14, v4, v12
	v_mul_lo_u32 v12, v4, v12
	v_mul_hi_u32 v16, v4, v6
	v_add_co_u32_e32 v11, vcc, v11, v13
	v_addc_co_u32_e32 v13, vcc, 0, v15, vcc
	v_mul_lo_u32 v6, v4, v6
	v_add_co_u32_e32 v11, vcc, v11, v12
	v_addc_co_u32_e32 v11, vcc, v13, v14, vcc
	v_addc_co_u32_e32 v12, vcc, 0, v16, vcc
	v_add_co_u32_e32 v6, vcc, v11, v6
	v_addc_co_u32_e32 v11, vcc, 0, v12, vcc
	v_add_co_u32_e32 v3, vcc, v3, v6
	v_addc_co_u32_e32 v4, vcc, v4, v11, vcc
	v_mul_lo_u32 v6, s0, v4
	v_mul_hi_u32 v11, s0, v3
	v_mul_lo_u32 v12, s1, v3
	v_mul_lo_u32 v13, s0, v3
	v_add_u32_e32 v6, v11, v6
	v_add_u32_e32 v6, v6, v12
	v_mul_lo_u32 v14, v3, v6
	v_mul_hi_u32 v15, v3, v13
	v_mul_hi_u32 v16, v3, v6
	v_mul_hi_u32 v12, v4, v13
	v_mul_lo_u32 v13, v4, v13
	v_mul_hi_u32 v11, v4, v6
	v_add_co_u32_e32 v14, vcc, v15, v14
	v_addc_co_u32_e32 v15, vcc, 0, v16, vcc
	v_mul_lo_u32 v6, v4, v6
	v_add_co_u32_e32 v13, vcc, v14, v13
	v_addc_co_u32_e32 v12, vcc, v15, v12, vcc
	v_addc_co_u32_e32 v11, vcc, 0, v11, vcc
	v_add_co_u32_e32 v6, vcc, v12, v6
	v_addc_co_u32_e32 v11, vcc, 0, v11, vcc
	v_add_co_u32_e32 v6, vcc, v3, v6
	v_addc_co_u32_e32 v11, vcc, v4, v11, vcc
	v_mad_u64_u32 v[3:4], s[0:1], v7, v11, 0
	v_mul_hi_u32 v12, v7, v6
	v_add_co_u32_e32 v13, vcc, v12, v3
	v_addc_co_u32_e32 v14, vcc, 0, v4, vcc
	v_mad_u64_u32 v[3:4], s[0:1], v8, v6, 0
	v_mad_u64_u32 v[11:12], s[0:1], v8, v11, 0
	v_add_co_u32_e32 v3, vcc, v13, v3
	v_addc_co_u32_e32 v3, vcc, v14, v4, vcc
	v_addc_co_u32_e32 v4, vcc, 0, v12, vcc
	v_add_co_u32_e32 v6, vcc, v3, v11
	v_addc_co_u32_e32 v11, vcc, 0, v4, vcc
	v_mul_lo_u32 v12, s25, v6
	v_mul_lo_u32 v13, s24, v11
	v_mad_u64_u32 v[3:4], s[0:1], s24, v6, 0
	v_add3_u32 v4, v4, v13, v12
	v_sub_u32_e32 v12, v8, v4
	v_mov_b32_e32 v13, s25
	v_sub_co_u32_e32 v3, vcc, v7, v3
	v_subb_co_u32_e64 v12, s[0:1], v12, v13, vcc
	v_subrev_co_u32_e64 v13, s[0:1], s24, v3
	v_subbrev_co_u32_e64 v12, s[0:1], 0, v12, s[0:1]
	v_cmp_le_u32_e64 s[0:1], s25, v12
	v_cndmask_b32_e64 v14, 0, -1, s[0:1]
	v_cmp_le_u32_e64 s[0:1], s24, v13
	v_cndmask_b32_e64 v13, 0, -1, s[0:1]
	v_cmp_eq_u32_e64 s[0:1], s25, v12
	v_cndmask_b32_e64 v12, v14, v13, s[0:1]
	v_add_co_u32_e64 v13, s[0:1], 2, v6
	v_addc_co_u32_e64 v14, s[0:1], 0, v11, s[0:1]
	v_add_co_u32_e64 v15, s[0:1], 1, v6
	v_addc_co_u32_e64 v16, s[0:1], 0, v11, s[0:1]
	v_subb_co_u32_e32 v4, vcc, v8, v4, vcc
	v_cmp_ne_u32_e64 s[0:1], 0, v12
	v_cmp_le_u32_e32 vcc, s25, v4
	v_cndmask_b32_e64 v12, v16, v14, s[0:1]
	v_cndmask_b32_e64 v14, 0, -1, vcc
	v_cmp_le_u32_e32 vcc, s24, v3
	v_cndmask_b32_e64 v3, 0, -1, vcc
	v_cmp_eq_u32_e32 vcc, s25, v4
	v_cndmask_b32_e32 v3, v14, v3, vcc
	v_cmp_ne_u32_e32 vcc, 0, v3
	v_cndmask_b32_e64 v3, v15, v13, s[0:1]
	v_cndmask_b32_e32 v4, v11, v12, vcc
	v_cndmask_b32_e32 v3, v6, v3, vcc
.LBB0_4:                                ;   in Loop: Header=BB0_2 Depth=1
	s_andn2_saveexec_b64 s[0:1], s[26:27]
	s_cbranch_execz .LBB0_6
; %bb.5:                                ;   in Loop: Header=BB0_2 Depth=1
	v_cvt_f32_u32_e32 v3, s24
	s_sub_i32 s26, 0, s24
	v_rcp_iflag_f32_e32 v3, v3
	v_mul_f32_e32 v3, 0x4f7ffffe, v3
	v_cvt_u32_f32_e32 v3, v3
	v_mul_lo_u32 v4, s26, v3
	v_mul_hi_u32 v4, v3, v4
	v_add_u32_e32 v3, v3, v4
	v_mul_hi_u32 v3, v7, v3
	v_mul_lo_u32 v4, v3, s24
	v_add_u32_e32 v6, 1, v3
	v_sub_u32_e32 v4, v7, v4
	v_subrev_u32_e32 v11, s24, v4
	v_cmp_le_u32_e32 vcc, s24, v4
	v_cndmask_b32_e32 v4, v4, v11, vcc
	v_cndmask_b32_e32 v3, v3, v6, vcc
	v_add_u32_e32 v6, 1, v3
	v_cmp_le_u32_e32 vcc, s24, v4
	v_cndmask_b32_e32 v3, v3, v6, vcc
	v_mov_b32_e32 v4, v5
.LBB0_6:                                ;   in Loop: Header=BB0_2 Depth=1
	s_or_b64 exec, exec, s[0:1]
	v_mul_lo_u32 v6, v4, s24
	v_mul_lo_u32 v13, v3, s25
	v_mad_u64_u32 v[11:12], s[0:1], v3, s24, 0
	s_load_dwordx2 s[0:1], s[6:7], 0x0
	s_load_dwordx2 s[24:25], s[2:3], 0x0
	v_add3_u32 v6, v12, v13, v6
	v_sub_co_u32_e32 v7, vcc, v7, v11
	v_subb_co_u32_e32 v6, vcc, v8, v6, vcc
	s_waitcnt lgkmcnt(0)
	v_mul_lo_u32 v8, s0, v6
	v_mul_lo_u32 v11, s1, v7
	v_mad_u64_u32 v[9:10], s[0:1], s0, v7, v[9:10]
	v_mul_lo_u32 v6, s24, v6
	v_mul_lo_u32 v12, s25, v7
	v_mad_u64_u32 v[1:2], s[0:1], s24, v7, v[1:2]
	s_add_u32 s22, s22, 1
	s_addc_u32 s23, s23, 0
	s_add_u32 s2, s2, 8
	v_add3_u32 v2, v12, v2, v6
	s_addc_u32 s3, s3, 0
	v_mov_b32_e32 v6, s10
	s_add_u32 s6, s6, 8
	v_mov_b32_e32 v7, s11
	s_addc_u32 s7, s7, 0
	v_cmp_ge_u64_e32 vcc, s[22:23], v[6:7]
	s_add_u32 s20, s20, 8
	v_add3_u32 v10, v11, v10, v8
	s_addc_u32 s21, s21, 0
	s_cbranch_vccnz .LBB0_9
; %bb.7:                                ;   in Loop: Header=BB0_2 Depth=1
	v_mov_b32_e32 v8, v4
	v_mov_b32_e32 v7, v3
	s_branch .LBB0_2
.LBB0_8:
	v_mov_b32_e32 v1, v9
	v_mov_b32_e32 v3, v7
	;; [unrolled: 1-line block ×4, first 2 shown]
.LBB0_9:
	s_load_dwordx2 s[4:5], s[4:5], 0x28
	s_lshl_b64 s[6:7], s[10:11], 3
	s_add_u32 s2, s18, s6
	s_addc_u32 s3, s19, s7
                                        ; implicit-def: $vgpr71
	s_waitcnt lgkmcnt(0)
	v_cmp_gt_u64_e64 s[0:1], s[4:5], v[3:4]
	v_cmp_le_u64_e32 vcc, s[4:5], v[3:4]
	s_and_saveexec_b64 s[4:5], vcc
	s_xor_b64 s[4:5], exec, s[4:5]
; %bb.10:
	s_mov_b32 s10, 0x4104105
	v_mul_hi_u32 v5, v0, s10
                                        ; implicit-def: $vgpr9_vgpr10
	v_mul_u32_u24_e32 v5, 63, v5
	v_sub_u32_e32 v71, v0, v5
                                        ; implicit-def: $vgpr0
; %bb.11:
	s_or_saveexec_b64 s[4:5], s[4:5]
                                        ; implicit-def: $vgpr34
                                        ; implicit-def: $vgpr52
                                        ; implicit-def: $vgpr36
                                        ; implicit-def: $vgpr16
                                        ; implicit-def: $vgpr6
                                        ; implicit-def: $vgpr42
                                        ; implicit-def: $vgpr58
                                        ; implicit-def: $vgpr44
                                        ; implicit-def: $vgpr38
                                        ; implicit-def: $vgpr18
                                        ; implicit-def: $vgpr26
                                        ; implicit-def: $vgpr20
                                        ; implicit-def: $vgpr22
                                        ; implicit-def: $vgpr28
                                        ; implicit-def: $vgpr46
                                        ; implicit-def: $vgpr40
                                        ; implicit-def: $vgpr48
                                        ; implicit-def: $vgpr24
                                        ; implicit-def: $vgpr54
                                        ; implicit-def: $vgpr30
                                        ; implicit-def: $vgpr62
                                        ; implicit-def: $vgpr32
                                        ; implicit-def: $vgpr50
                                        ; implicit-def: $vgpr8
                                        ; implicit-def: $vgpr64
                                        ; implicit-def: $vgpr56
                                        ; implicit-def: $vgpr60
	s_xor_b64 exec, exec, s[4:5]
	s_cbranch_execz .LBB0_13
; %bb.12:
	s_add_u32 s6, s16, s6
	s_addc_u32 s7, s17, s7
	s_load_dwordx2 s[6:7], s[6:7], 0x0
	s_mov_b32 s10, 0x4104105
	v_mul_hi_u32 v7, v0, s10
	s_waitcnt lgkmcnt(0)
	v_mul_lo_u32 v8, s7, v3
	v_mul_lo_u32 v11, s6, v4
	v_mad_u64_u32 v[5:6], s[6:7], s6, v3, 0
	v_mul_u32_u24_e32 v7, 63, v7
	v_sub_u32_e32 v71, v0, v7
	v_add3_u32 v6, v6, v11, v8
	v_lshlrev_b64 v[5:6], 3, v[5:6]
	v_mov_b32_e32 v0, s13
	v_add_co_u32_e32 v7, vcc, s12, v5
	v_addc_co_u32_e32 v0, vcc, v0, v6, vcc
	v_lshlrev_b64 v[5:6], 3, v[9:10]
	s_movk_i32 s6, 0x1000
	v_add_co_u32_e32 v5, vcc, v7, v5
	v_addc_co_u32_e32 v0, vcc, v0, v6, vcc
	v_lshlrev_b32_e32 v6, 3, v71
	v_add_co_u32_e32 v9, vcc, v5, v6
	v_addc_co_u32_e32 v10, vcc, 0, v0, vcc
	v_add_co_u32_e32 v11, vcc, s6, v9
	v_addc_co_u32_e32 v12, vcc, 0, v10, vcc
	s_movk_i32 s6, 0x2000
	v_add_co_u32_e32 v13, vcc, s6, v9
	v_addc_co_u32_e32 v14, vcc, 0, v10, vcc
	v_add_co_u32_e32 v65, vcc, 0x3000, v9
	global_load_dwordx2 v[15:16], v[11:12], off offset:944
	global_load_dwordx2 v[5:6], v[11:12], off offset:1448
	;; [unrolled: 1-line block ×7, first 2 shown]
	v_addc_co_u32_e32 v66, vcc, 0, v10, vcc
	global_load_dwordx2 v[33:34], v[9:10], off
	global_load_dwordx2 v[59:60], v[9:10], off offset:504
	global_load_dwordx2 v[63:64], v[9:10], off offset:1008
	;; [unrolled: 1-line block ×14, first 2 shown]
                                        ; kill: killed $vgpr9 killed $vgpr10
                                        ; kill: killed $vgpr11 killed $vgpr12
	global_load_dwordx2 v[35:36], v[13:14], off offset:880
	global_load_dwordx2 v[39:40], v[13:14], off offset:376
	;; [unrolled: 1-line block ×5, first 2 shown]
.LBB0_13:
	s_or_b64 exec, exec, s[4:5]
	s_waitcnt vmcnt(4)
	v_add_f32_e32 v9, v51, v35
	v_add_f32_e32 v0, v33, v51
	v_fmac_f32_e32 v33, -0.5, v9
	v_sub_f32_e32 v9, v52, v36
	v_mov_b32_e32 v10, v33
	v_add_f32_e32 v12, v15, v55
	v_add_f32_e32 v0, v0, v35
	v_fmac_f32_e32 v10, 0xbf5db3d7, v9
	v_add_f32_e32 v11, v15, v59
	v_fmac_f32_e32 v59, -0.5, v12
	v_mad_u32_u24 v72, v71, 12, 0
	ds_write2_b32 v72, v0, v10 offset1:1
	v_sub_f32_e32 v0, v16, v56
	v_mov_b32_e32 v10, v59
	v_add_f32_e32 v11, v55, v11
	v_fmac_f32_e32 v10, 0xbf5db3d7, v0
	ds_write2_b32 v72, v11, v10 offset0:189 offset1:190
	v_add_f32_e32 v11, v5, v41
	v_add_f32_e32 v10, v5, v63
	v_fmac_f32_e32 v63, -0.5, v11
	v_sub_f32_e32 v11, v6, v42
	v_mov_b32_e32 v12, v63
	v_add_f32_e32 v10, v41, v10
	v_fmac_f32_e32 v12, 0xbf5db3d7, v11
	v_add_u32_e32 v73, 0x5e8, v72
	ds_write2_b32 v73, v10, v12 offset1:1
	v_add_f32_e32 v12, v43, v7
	v_add_f32_e32 v10, v57, v7
	v_fmac_f32_e32 v57, -0.5, v12
	v_fmac_f32_e32 v59, 0x3f5db3d7, v0
	v_add_f32_e32 v0, v6, v42
	v_sub_f32_e32 v12, v8, v44
	v_mov_b32_e32 v13, v57
	v_add_f32_e32 v76, v6, v64
	v_fmac_f32_e32 v64, -0.5, v0
	v_sub_f32_e32 v77, v5, v41
	v_add_f32_e32 v0, v44, v8
	v_add_f32_e32 v5, v25, v61
	;; [unrolled: 1-line block ×3, first 2 shown]
	v_fmac_f32_e32 v13, 0xbf5db3d7, v12
	v_add_u32_e32 v74, 0x8dc, v72
	v_add_f32_e32 v78, v58, v8
	v_fmac_f32_e32 v58, -0.5, v0
	v_add_f32_e32 v0, v17, v25
	v_fmac_f32_e32 v17, -0.5, v5
	ds_write2_b32 v74, v10, v13 offset1:1
	v_add_f32_e32 v13, v37, v31
	v_sub_f32_e32 v79, v7, v43
	v_sub_f32_e32 v5, v26, v62
	v_mov_b32_e32 v6, v17
	s_waitcnt vmcnt(2)
	v_add_f32_e32 v7, v53, v29
	v_add_f32_e32 v10, v31, v49
	v_fmac_f32_e32 v49, -0.5, v13
	v_fmac_f32_e32 v6, 0xbf5db3d7, v5
	v_fmac_f32_e32 v17, 0x3f5db3d7, v5
	v_add_f32_e32 v5, v19, v29
	v_fmac_f32_e32 v19, -0.5, v7
	v_sub_f32_e32 v13, v32, v38
	v_mov_b32_e32 v14, v49
	v_fmac_f32_e32 v33, 0x3f5db3d7, v9
	v_sub_f32_e32 v7, v30, v54
	v_mov_b32_e32 v8, v19
	s_waitcnt vmcnt(1)
	v_add_f32_e32 v9, v27, v45
	v_add_f32_e32 v10, v37, v10
	v_fmac_f32_e32 v14, 0xbf5db3d7, v13
	v_add_u32_e32 v75, 0xbd0, v72
	v_fmac_f32_e32 v49, 0x3f5db3d7, v13
	v_fmac_f32_e32 v8, 0xbf5db3d7, v7
	;; [unrolled: 1-line block ×3, first 2 shown]
	v_add_f32_e32 v7, v21, v27
	v_fmac_f32_e32 v21, -0.5, v9
	v_add_f32_e32 v0, v0, v61
	v_add_u32_e32 v80, 0xb00, v72
	ds_write2_b32 v75, v10, v14 offset1:1
	v_fmac_f32_e32 v63, 0x3f5db3d7, v11
	v_fmac_f32_e32 v57, 0x3f5db3d7, v12
	v_sub_f32_e32 v9, v28, v46
	v_mov_b32_e32 v10, v21
	s_waitcnt vmcnt(0)
	v_add_f32_e32 v11, v39, v47
	ds_write2_b32 v80, v49, v0 offset0:54 offset1:241
	ds_write2_b32 v72, v33, v59 offset0:2 offset1:191
	v_add_u32_e32 v49, 0x500, v72
	v_add_f32_e32 v0, v53, v5
	v_fmac_f32_e32 v10, 0xbf5db3d7, v9
	v_fmac_f32_e32 v21, 0x3f5db3d7, v9
	v_add_f32_e32 v9, v39, v23
	v_fmac_f32_e32 v23, -0.5, v11
	ds_write2_b32 v49, v63, v57 offset0:60 offset1:249
	v_add_u32_e32 v63, 0xec8, v72
	ds_write_b32 v72, v0 offset:4536
	v_add_f32_e32 v0, v7, v45
	v_sub_f32_e32 v11, v40, v48
	v_mov_b32_e32 v12, v23
	ds_write2_b32 v63, v6, v17 offset1:1
	v_add_u32_e32 v17, 0x11bc, v72
	ds_write_b32 v72, v0 offset:5292
	v_add_f32_e32 v0, v47, v9
	v_fmac_f32_e32 v12, 0xbf5db3d7, v11
	v_fmac_f32_e32 v23, 0x3f5db3d7, v11
	ds_write2_b32 v17, v8, v19 offset1:1
	v_add_u32_e32 v19, 0x14b0, v72
	ds_write_b32 v72, v0 offset:6048
	v_add_u32_e32 v81, 0x17a4, v72
	v_mov_b32_e32 v82, v64
	v_fmac_f32_e32 v64, 0xbf5db3d7, v77
	v_mov_b32_e32 v83, v58
	v_fmac_f32_e32 v58, 0xbf5db3d7, v79
	v_lshl_add_u32 v0, v71, 2, 0
	ds_write2_b32 v19, v10, v21 offset1:1
	ds_write2_b32 v81, v12, v23 offset1:1
	s_load_dwordx2 s[2:3], s[2:3], 0x0
	s_waitcnt lgkmcnt(0)
	; wave barrier
	s_waitcnt lgkmcnt(0)
	v_add_u32_e32 v43, 0x600, v0
	v_add_u32_e32 v41, 0x1000, v0
	;; [unrolled: 1-line block ×11, first 2 shown]
	ds_read_b32 v99, v0 offset:6552
	ds_read2_b32 v[13:14], v0 offset1:63
	ds_read2_b32 v[5:6], v43 offset0:120 offset1:183
	ds_read2_b32 v[69:70], v41 offset0:110 offset1:173
	;; [unrolled: 1-line block ×12, first 2 shown]
	s_waitcnt lgkmcnt(0)
	; wave barrier
	s_waitcnt lgkmcnt(0)
	ds_write2_b32 v49, v64, v58 offset0:60 offset1:249
	v_add_f32_e32 v49, v34, v52
	v_add_f32_e32 v52, v52, v36
	v_sub_f32_e32 v35, v51, v35
	v_add_f32_e32 v51, v16, v60
	v_add_f32_e32 v16, v16, v56
	v_fmac_f32_e32 v34, -0.5, v52
	v_fmac_f32_e32 v60, -0.5, v16
	v_sub_f32_e32 v15, v15, v55
	v_mov_b32_e32 v16, v34
	v_fmac_f32_e32 v34, 0xbf5db3d7, v35
	v_mov_b32_e32 v52, v60
	v_fmac_f32_e32 v60, 0xbf5db3d7, v15
	ds_write2_b32 v72, v34, v60 offset0:2 offset1:191
	v_add_f32_e32 v34, v32, v50
	v_add_f32_e32 v32, v38, v32
	v_fmac_f32_e32 v50, -0.5, v32
	v_sub_f32_e32 v31, v31, v37
	v_mov_b32_e32 v32, v50
	v_add_f32_e32 v37, v18, v26
	v_add_f32_e32 v26, v26, v62
	v_fmac_f32_e32 v50, 0xbf5db3d7, v31
	v_add_f32_e32 v37, v37, v62
	v_add_f32_e32 v34, v38, v34
	v_fmac_f32_e32 v32, 0x3f5db3d7, v31
	v_fmac_f32_e32 v18, -0.5, v26
	ds_write2_b32 v80, v50, v37 offset0:54 offset1:241
	v_sub_f32_e32 v25, v25, v61
	v_add_f32_e32 v37, v42, v76
	v_fmac_f32_e32 v82, 0x3f5db3d7, v77
	ds_write2_b32 v75, v34, v32 offset1:1
	v_add_f32_e32 v31, v49, v36
	v_add_f32_e32 v34, v20, v30
	;; [unrolled: 1-line block ×5, first 2 shown]
	v_fmac_f32_e32 v52, 0x3f5db3d7, v15
	v_mov_b32_e32 v15, v18
	ds_write2_b32 v73, v37, v82 offset1:1
	v_add_f32_e32 v37, v44, v78
	v_fmac_f32_e32 v83, 0x3f5db3d7, v79
	v_add_f32_e32 v32, v56, v51
	v_add_f32_e32 v38, v40, v48
	v_fmac_f32_e32 v16, 0x3f5db3d7, v35
	v_fmac_f32_e32 v15, 0x3f5db3d7, v25
	;; [unrolled: 1-line block ×3, first 2 shown]
	v_fmac_f32_e32 v20, -0.5, v30
	v_fmac_f32_e32 v22, -0.5, v28
	v_add_u32_e32 v25, 0x1f8, v71
	s_mov_b32 s4, 0xaaab
	ds_write2_b32 v74, v37, v83 offset1:1
	v_sub_f32_e32 v29, v29, v53
	v_sub_f32_e32 v27, v27, v45
	v_add_f32_e32 v37, v40, v24
	ds_write2_b32 v72, v31, v16 offset1:1
	ds_write2_b32 v72, v32, v52 offset0:189 offset1:190
	v_mov_b32_e32 v16, v20
	v_mov_b32_e32 v26, v22
	v_fmac_f32_e32 v24, -0.5, v38
	ds_write2_b32 v63, v15, v18 offset1:1
	v_mul_u32_u24_sdwa v15, v25, s4 dst_sel:DWORD dst_unused:UNUSED_PAD src0_sel:WORD_0 src1_sel:DWORD
	v_add_f32_e32 v34, v54, v34
	v_sub_f32_e32 v39, v39, v47
	v_fmac_f32_e32 v16, 0x3f5db3d7, v29
	v_fmac_f32_e32 v26, 0x3f5db3d7, v27
	;; [unrolled: 1-line block ×3, first 2 shown]
	v_mov_b32_e32 v27, v24
	v_lshrrev_b32_e32 v15, 17, v15
	v_add_f32_e32 v36, v36, v46
	v_add_f32_e32 v37, v48, v37
	v_fmac_f32_e32 v20, 0xbf5db3d7, v29
	v_fmac_f32_e32 v27, 0x3f5db3d7, v39
	v_fmac_f32_e32 v24, 0xbf5db3d7, v39
	ds_write_b32 v72, v34 offset:4536
	ds_write2_b32 v17, v16, v20 offset1:1
	ds_write_b32 v72, v36 offset:5292
	ds_write2_b32 v19, v26, v22 offset1:1
	;; [unrolled: 2-line block ×3, first 2 shown]
	v_mul_lo_u16_e32 v16, 3, v15
	v_sub_u16_e32 v16, v25, v16
	v_lshlrev_b32_e32 v17, 4, v16
	v_add_u32_e32 v27, 0x1b9, v71
	s_waitcnt lgkmcnt(0)
	; wave barrier
	s_waitcnt lgkmcnt(0)
	global_load_dwordx4 v[29:32], v17, s[8:9]
	v_mul_u32_u24_sdwa v17, v27, s4 dst_sel:DWORD dst_unused:UNUSED_PAD src0_sel:WORD_0 src1_sel:DWORD
	v_lshrrev_b32_e32 v17, 17, v17
	v_mul_lo_u16_e32 v18, 3, v17
	v_sub_u16_e32 v18, v27, v18
	v_lshlrev_b32_e32 v19, 4, v18
	global_load_dwordx4 v[34:37], v19, s[8:9]
	v_add_u32_e32 v20, 0x17a, v71
	v_mul_u32_u24_sdwa v19, v20, s4 dst_sel:DWORD dst_unused:UNUSED_PAD src0_sel:WORD_0 src1_sel:DWORD
	v_lshrrev_b32_e32 v19, 17, v19
	v_mul_lo_u16_e32 v22, 3, v19
	v_sub_u16_e32 v40, v20, v22
	v_lshlrev_b32_e32 v22, 4, v40
	global_load_dwordx4 v[44:47], v22, s[8:9]
	v_add_u32_e32 v24, 0x13b, v71
	;; [unrolled: 7-line block ×3, first 2 shown]
	v_mul_u32_u24_sdwa v22, v28, s4 dst_sel:DWORD dst_unused:UNUSED_PAD src0_sel:WORD_0 src1_sel:DWORD
	v_lshrrev_b32_e32 v64, 17, v22
	v_mul_lo_u16_e32 v22, 3, v64
	v_sub_u16_e32 v100, v28, v22
	v_lshlrev_b32_e32 v22, 4, v100
	global_load_dwordx4 v[53:56], v22, s[8:9]
	s_movk_i32 s4, 0xab
	v_add_u32_e32 v72, 0xbd, v71
	v_mul_lo_u16_sdwa v22, v72, s4 dst_sel:DWORD dst_unused:UNUSED_PAD src0_sel:BYTE_0 src1_sel:DWORD
	v_lshrrev_b16_e32 v101, 9, v22
	v_mul_lo_u16_e32 v22, 3, v101
	v_sub_u16_e32 v102, v72, v22
	v_mov_b32_e32 v22, 4
	v_lshlrev_b32_sdwa v26, v22, v102 dst_sel:DWORD dst_unused:UNUSED_PAD src0_sel:DWORD src1_sel:BYTE_0
	global_load_dwordx4 v[60:63], v26, s[8:9]
	v_add_u32_e32 v52, 0x7e, v71
	v_mul_lo_u16_sdwa v26, v52, s4 dst_sel:DWORD dst_unused:UNUSED_PAD src0_sel:BYTE_0 src1_sel:DWORD
	v_lshrrev_b16_e32 v103, 9, v26
	v_mul_lo_u16_e32 v26, 3, v103
	v_sub_u16_e32 v104, v52, v26
	v_lshlrev_b32_sdwa v26, v22, v104 dst_sel:DWORD dst_unused:UNUSED_PAD src0_sel:DWORD src1_sel:BYTE_0
	global_load_dwordx4 v[73:76], v26, s[8:9]
	v_add_u32_e32 v26, 63, v71
	v_mul_lo_u16_sdwa v38, v26, s4 dst_sel:DWORD dst_unused:UNUSED_PAD src0_sel:BYTE_0 src1_sel:DWORD
	v_lshrrev_b16_e32 v105, 9, v38
	v_mul_lo_u16_e32 v38, 3, v105
	v_sub_u16_e32 v106, v26, v38
	v_lshlrev_b32_sdwa v38, v22, v106 dst_sel:DWORD dst_unused:UNUSED_PAD src0_sel:DWORD src1_sel:BYTE_0
	global_load_dwordx4 v[77:80], v38, s[8:9]
	v_mul_lo_u16_sdwa v38, v71, s4 dst_sel:DWORD dst_unused:UNUSED_PAD src0_sel:BYTE_0 src1_sel:DWORD
	v_lshrrev_b16_e32 v107, 9, v38
	v_mul_lo_u16_e32 v38, 3, v107
	v_sub_u16_e32 v108, v71, v38
	v_lshlrev_b32_sdwa v38, v22, v108 dst_sel:DWORD dst_unused:UNUSED_PAD src0_sel:DWORD src1_sel:BYTE_0
	global_load_dwordx4 v[81:84], v38, s[8:9]
	ds_read2_b32 v[38:39], v68 offset0:112 offset1:175
	ds_read_b32 v109, v0 offset:6552
	s_mov_b32 s4, 0xe38f
	v_cmp_gt_u32_e32 vcc, 18, v71
	s_waitcnt vmcnt(8) lgkmcnt(1)
	v_mul_f32_e32 v110, v39, v30
	v_mul_f32_e32 v30, v98, v30
	v_fmac_f32_e32 v110, v98, v29
	v_fma_f32 v112, v39, v29, -v30
	ds_read2_b32 v[29:30], v33 offset0:104 offset1:167
	s_waitcnt lgkmcnt(1)
	v_mul_f32_e32 v111, v109, v32
	v_mul_f32_e32 v32, v99, v32
	v_fmac_f32_e32 v111, v99, v31
	v_fma_f32 v109, v109, v31, -v32
	s_waitcnt vmcnt(7)
	v_mul_f32_e32 v31, v97, v35
	v_fma_f32 v114, v38, v34, -v31
	v_mul_f32_e32 v31, v96, v37
	s_waitcnt lgkmcnt(0)
	v_mul_f32_e32 v115, v30, v37
	v_fma_f32 v116, v30, v36, -v31
	ds_read2_b32 v[30:31], v65 offset0:114 offset1:177
	s_waitcnt vmcnt(6)
	v_mul_f32_e32 v117, v29, v47
	v_mul_f32_e32 v32, v95, v47
	v_fmac_f32_e32 v117, v95, v46
	v_fma_f32 v46, v29, v46, -v32
	s_waitcnt lgkmcnt(0)
	v_mul_f32_e32 v47, v31, v45
	v_mul_f32_e32 v29, v94, v45
	v_fmac_f32_e32 v47, v94, v44
	v_fma_f32 v44, v31, v44, -v29
	ds_read2_b32 v[31:32], v66 offset0:106 offset1:169
	s_waitcnt vmcnt(5)
	v_mul_f32_e32 v45, v30, v49
	v_mul_f32_e32 v29, v93, v49
	v_fmac_f32_e32 v45, v93, v48
	v_fma_f32 v48, v30, v48, -v29
	s_waitcnt lgkmcnt(0)
	v_mul_f32_e32 v49, v32, v51
	v_mul_f32_e32 v29, v92, v51
	v_fmac_f32_e32 v49, v92, v50
	;; [unrolled: 11-line block ×6, first 2 shown]
	v_fma_f32 v79, v30, v79, -v31
	ds_read2_b32 v[30:31], v43 offset0:120 offset1:183
	s_waitcnt vmcnt(0)
	v_mul_f32_e32 v70, v29, v84
	v_mul_f32_e32 v32, v69, v84
	v_fmac_f32_e32 v70, v69, v83
	v_fma_f32 v69, v29, v83, -v32
	s_waitcnt lgkmcnt(0)
	v_mul_f32_e32 v80, v31, v82
	v_fmac_f32_e32 v80, v6, v81
	v_mul_f32_e32 v6, v6, v82
	v_mov_b32_e32 v29, 2
	v_fma_f32 v6, v31, v81, -v6
	v_mul_u32_u24_e32 v31, 36, v107
	v_lshlrev_b32_sdwa v32, v29, v108 dst_sel:DWORD dst_unused:UNUSED_PAD src0_sel:DWORD src1_sel:BYTE_0
	v_add3_u32 v81, 0, v31, v32
	v_add_f32_e32 v31, v13, v80
	v_add_f32_e32 v82, v31, v70
	v_add_f32_e32 v31, v80, v70
	v_fma_f32 v13, -0.5, v31, v13
	v_sub_f32_e32 v83, v6, v69
	v_mov_b32_e32 v84, v13
	v_mul_f32_e32 v113, v38, v35
	v_fmac_f32_e32 v84, 0xbf5db3d7, v83
	v_fmac_f32_e32 v13, 0x3f5db3d7, v83
	v_add_f32_e32 v83, v74, v78
	v_fmac_f32_e32 v113, v97, v34
	v_fmac_f32_e32 v115, v96, v36
	ds_read2_b32 v[31:32], v0 offset1:63
	ds_read2_b32 v[34:35], v0 offset0:126 offset1:189
	ds_read2_b32 v[36:37], v21 offset0:124 offset1:187
	;; [unrolled: 1-line block ×3, first 2 shown]
	s_waitcnt lgkmcnt(0)
	; wave barrier
	s_waitcnt lgkmcnt(0)
	ds_write2_b32 v81, v82, v84 offset1:3
	v_add_f32_e32 v82, v14, v74
	v_fmac_f32_e32 v14, -0.5, v83
	ds_write_b32 v81, v13 offset:24
	v_mul_u32_u24_e32 v13, 36, v105
	v_lshlrev_b32_sdwa v83, v29, v106 dst_sel:DWORD dst_unused:UNUSED_PAD src0_sel:DWORD src1_sel:BYTE_0
	v_add3_u32 v83, 0, v13, v83
	v_add_f32_e32 v13, v82, v78
	v_sub_f32_e32 v82, v77, v79
	v_mov_b32_e32 v84, v14
	v_fmac_f32_e32 v84, 0xbf5db3d7, v82
	v_fmac_f32_e32 v14, 0x3f5db3d7, v82
	ds_write2_b32 v83, v13, v84 offset1:3
	ds_write_b32 v83, v14 offset:24
	v_mul_u32_u24_e32 v13, 36, v103
	v_lshlrev_b32_sdwa v14, v29, v104 dst_sel:DWORD dst_unused:UNUSED_PAD src0_sel:DWORD src1_sel:BYTE_0
	v_add3_u32 v82, 0, v13, v14
	v_add_f32_e32 v14, v76, v63
	v_add_f32_e32 v13, v11, v76
	v_fma_f32 v11, -0.5, v14, v11
	v_sub_f32_e32 v14, v73, v75
	v_mov_b32_e32 v84, v11
	v_add_f32_e32 v13, v13, v63
	v_fmac_f32_e32 v84, 0xbf5db3d7, v14
	v_fmac_f32_e32 v11, 0x3f5db3d7, v14
	v_add_f32_e32 v14, v54, v61
	ds_write2_b32 v82, v13, v84 offset1:3
	v_add_f32_e32 v13, v12, v54
	v_fmac_f32_e32 v12, -0.5, v14
	ds_write_b32 v82, v11 offset:24
	v_mul_u32_u24_e32 v11, 36, v101
	v_lshlrev_b32_sdwa v14, v29, v102 dst_sel:DWORD dst_unused:UNUSED_PAD src0_sel:DWORD src1_sel:BYTE_0
	v_add3_u32 v84, 0, v11, v14
	v_add_f32_e32 v11, v13, v61
	v_sub_f32_e32 v13, v60, v62
	v_mov_b32_e32 v14, v12
	v_fmac_f32_e32 v14, 0xbf5db3d7, v13
	v_fmac_f32_e32 v12, 0x3f5db3d7, v13
	ds_write2_b32 v84, v11, v14 offset1:3
	ds_write_b32 v84, v12 offset:24
	v_mul_u32_u24_e32 v11, 36, v64
	v_lshlrev_b32_e32 v12, 2, v100
	v_add3_u32 v64, 0, v11, v12
	v_add_f32_e32 v12, v56, v51
	v_add_f32_e32 v11, v9, v56
	v_fma_f32 v9, -0.5, v12, v9
	v_sub_f32_e32 v12, v53, v55
	v_mov_b32_e32 v13, v9
	v_add_f32_e32 v11, v11, v51
	v_fmac_f32_e32 v13, 0xbf5db3d7, v12
	v_fmac_f32_e32 v9, 0x3f5db3d7, v12
	v_add_f32_e32 v12, v45, v49
	ds_write2_b32 v64, v11, v13 offset1:3
	v_add_f32_e32 v11, v10, v45
	v_fmac_f32_e32 v10, -0.5, v12
	ds_write_b32 v64, v9 offset:24
	v_mul_u32_u24_e32 v9, 36, v42
	v_lshlrev_b32_e32 v12, 2, v58
	v_add3_u32 v42, 0, v9, v12
	v_add_f32_e32 v9, v11, v49
	v_sub_f32_e32 v11, v48, v50
	v_mov_b32_e32 v12, v10
	v_fmac_f32_e32 v12, 0xbf5db3d7, v11
	v_fmac_f32_e32 v10, 0x3f5db3d7, v11
	ds_write2_b32 v42, v9, v12 offset1:3
	ds_write_b32 v42, v10 offset:24
	v_mul_u32_u24_e32 v9, 36, v19
	v_lshlrev_b32_e32 v10, 2, v40
	v_add3_u32 v19, 0, v9, v10
	v_add_f32_e32 v10, v47, v117
	v_add_f32_e32 v9, v7, v47
	v_fma_f32 v7, -0.5, v10, v7
	v_sub_f32_e32 v10, v44, v46
	v_mov_b32_e32 v11, v7
	v_add_f32_e32 v9, v9, v117
	v_fmac_f32_e32 v11, 0xbf5db3d7, v10
	v_fmac_f32_e32 v7, 0x3f5db3d7, v10
	v_add_f32_e32 v10, v113, v115
	ds_write2_b32 v19, v9, v11 offset1:3
	v_add_f32_e32 v9, v8, v113
	v_fmac_f32_e32 v8, -0.5, v10
	ds_write_b32 v19, v7 offset:24
	v_mul_u32_u24_e32 v7, 36, v17
	v_lshlrev_b32_e32 v10, 2, v18
	v_add3_u32 v40, 0, v7, v10
	v_add_f32_e32 v7, v9, v115
	v_sub_f32_e32 v9, v114, v116
	v_mov_b32_e32 v10, v8
	v_fmac_f32_e32 v8, 0x3f5db3d7, v9
	v_fmac_f32_e32 v10, 0xbf5db3d7, v9
	ds_write_b32 v40, v8 offset:24
	v_add_f32_e32 v8, v110, v111
	ds_write2_b32 v40, v7, v10 offset1:3
	v_add_f32_e32 v7, v5, v110
	v_fmac_f32_e32 v5, -0.5, v8
	v_mul_u32_u24_e32 v8, 36, v15
	v_lshlrev_b32_e32 v9, 2, v16
	v_add3_u32 v15, 0, v8, v9
	v_sub_f32_e32 v8, v112, v109
	v_mov_b32_e32 v9, v5
	v_fmac_f32_e32 v5, 0x3f5db3d7, v8
	ds_write_b32 v15, v5 offset:24
	v_add_f32_e32 v5, v31, v6
	v_add_f32_e32 v16, v5, v69
	;; [unrolled: 1-line block ×3, first 2 shown]
	v_sub_f32_e32 v58, v80, v70
	v_fma_f32 v31, -0.5, v5, v31
	v_add_f32_e32 v7, v7, v111
	v_fmac_f32_e32 v9, 0xbf5db3d7, v8
	v_mov_b32_e32 v80, v31
	v_fmac_f32_e32 v31, 0xbf5db3d7, v58
	ds_write2_b32 v15, v7, v9 offset1:3
	v_fmac_f32_e32 v80, 0x3f5db3d7, v58
	s_waitcnt lgkmcnt(0)
	; wave barrier
	s_waitcnt lgkmcnt(0)
	ds_read_b32 v101, v0 offset:6552
	ds_read2_b32 v[13:14], v0 offset1:63
	ds_read2_b32 v[5:6], v43 offset0:120 offset1:183
	ds_read2_b32 v[17:18], v41 offset0:110 offset1:173
	;; [unrolled: 1-line block ×12, first 2 shown]
	s_waitcnt lgkmcnt(0)
	; wave barrier
	s_waitcnt lgkmcnt(0)
	ds_write_b32 v81, v31 offset:24
	v_add_f32_e32 v31, v77, v79
	ds_write2_b32 v81, v16, v80 offset1:3
	v_add_f32_e32 v16, v32, v77
	v_fmac_f32_e32 v32, -0.5, v31
	v_sub_f32_e32 v31, v74, v78
	v_mov_b32_e32 v58, v32
	v_fmac_f32_e32 v58, 0x3f5db3d7, v31
	v_fmac_f32_e32 v32, 0xbf5db3d7, v31
	v_add_f32_e32 v31, v73, v75
	v_add_f32_e32 v16, v16, v79
	ds_write_b32 v83, v32 offset:24
	v_sub_f32_e32 v32, v76, v63
	v_fma_f32 v31, -0.5, v31, v34
	ds_write2_b32 v83, v16, v58 offset1:3
	v_add_f32_e32 v16, v34, v73
	v_mov_b32_e32 v34, v31
	v_fmac_f32_e32 v31, 0xbf5db3d7, v32
	v_add_f32_e32 v16, v16, v75
	v_fmac_f32_e32 v34, 0x3f5db3d7, v32
	ds_write_b32 v82, v31 offset:24
	v_add_f32_e32 v31, v60, v62
	ds_write2_b32 v82, v16, v34 offset1:3
	v_add_f32_e32 v16, v35, v60
	v_fmac_f32_e32 v35, -0.5, v31
	v_sub_f32_e32 v31, v54, v61
	v_mov_b32_e32 v32, v35
	v_add_f32_e32 v16, v16, v62
	v_fmac_f32_e32 v32, 0x3f5db3d7, v31
	v_fmac_f32_e32 v35, 0xbf5db3d7, v31
	v_add_f32_e32 v31, v53, v55
	ds_write2_b32 v84, v16, v32 offset1:3
	v_sub_f32_e32 v32, v56, v51
	v_fma_f32 v31, -0.5, v31, v36
	v_add_f32_e32 v16, v36, v53
	v_mov_b32_e32 v34, v31
	v_fmac_f32_e32 v31, 0xbf5db3d7, v32
	ds_write_b32 v84, v35 offset:24
	v_add_f32_e32 v16, v16, v55
	v_fmac_f32_e32 v34, 0x3f5db3d7, v32
	ds_write_b32 v64, v31 offset:24
	v_add_f32_e32 v31, v48, v50
	ds_write2_b32 v64, v16, v34 offset1:3
	v_add_f32_e32 v16, v37, v48
	v_fmac_f32_e32 v37, -0.5, v31
	v_sub_f32_e32 v31, v45, v49
	v_mov_b32_e32 v32, v37
	v_fmac_f32_e32 v32, 0x3f5db3d7, v31
	v_fmac_f32_e32 v37, 0xbf5db3d7, v31
	v_add_f32_e32 v31, v44, v46
	v_add_f32_e32 v16, v16, v50
	v_fma_f32 v31, -0.5, v31, v38
	ds_write2_b32 v42, v16, v32 offset1:3
	v_add_f32_e32 v16, v38, v44
	v_sub_f32_e32 v32, v47, v117
	v_mov_b32_e32 v34, v31
	v_add_f32_e32 v16, v16, v46
	v_fmac_f32_e32 v34, 0x3f5db3d7, v32
	v_fmac_f32_e32 v31, 0xbf5db3d7, v32
	ds_write_b32 v42, v37 offset:24
	ds_write2_b32 v19, v16, v34 offset1:3
	ds_write_b32 v19, v31 offset:24
	v_add_f32_e32 v19, v114, v116
	v_add_f32_e32 v16, v39, v114
	v_fmac_f32_e32 v39, -0.5, v19
	v_sub_f32_e32 v19, v113, v115
	v_mov_b32_e32 v31, v39
	v_add_f32_e32 v32, v112, v109
	v_fmac_f32_e32 v31, 0x3f5db3d7, v19
	v_fmac_f32_e32 v39, 0xbf5db3d7, v19
	v_add_f32_e32 v19, v30, v112
	v_fmac_f32_e32 v30, -0.5, v32
	v_add_f32_e32 v16, v16, v116
	v_sub_f32_e32 v32, v110, v111
	v_mov_b32_e32 v34, v30
	v_add_f32_e32 v19, v19, v109
	v_fmac_f32_e32 v34, 0x3f5db3d7, v32
	v_fmac_f32_e32 v30, 0xbf5db3d7, v32
	ds_write2_b32 v40, v16, v31 offset1:3
	ds_write_b32 v40, v39 offset:24
	ds_write2_b32 v15, v19, v34 offset1:3
	ds_write_b32 v15, v30 offset:24
	v_mul_u32_u24_sdwa v15, v25, s4 dst_sel:DWORD dst_unused:UNUSED_PAD src0_sel:WORD_0 src1_sel:DWORD
	v_lshrrev_b32_e32 v15, 19, v15
	v_mul_lo_u16_e32 v16, 9, v15
	v_sub_u16_e32 v16, v25, v16
	v_lshlrev_b32_e32 v19, 4, v16
	s_waitcnt lgkmcnt(0)
	; wave barrier
	s_waitcnt lgkmcnt(0)
	global_load_dwordx4 v[34:37], v19, s[8:9] offset:48
	v_mul_u32_u24_sdwa v19, v27, s4 dst_sel:DWORD dst_unused:UNUSED_PAD src0_sel:WORD_0 src1_sel:DWORD
	v_lshrrev_b32_e32 v40, 19, v19
	v_mul_lo_u16_e32 v19, 9, v40
	v_sub_u16_e32 v42, v27, v19
	v_lshlrev_b32_e32 v19, 4, v42
	global_load_dwordx4 v[44:47], v19, s[8:9] offset:48
	v_mul_u32_u24_sdwa v19, v20, s4 dst_sel:DWORD dst_unused:UNUSED_PAD src0_sel:WORD_0 src1_sel:DWORD
	v_lshrrev_b32_e32 v58, 19, v19
	v_mul_lo_u16_e32 v19, 9, v58
	v_sub_u16_e32 v64, v20, v19
	v_lshlrev_b32_e32 v19, 4, v64
	;; [unrolled: 6-line block ×4, first 2 shown]
	global_load_dwordx4 v[60:63], v19, s[8:9] offset:48
	v_mov_b32_e32 v19, 57
	v_mul_lo_u16_sdwa v30, v72, v19 dst_sel:DWORD dst_unused:UNUSED_PAD src0_sel:BYTE_0 src1_sel:DWORD
	v_lshrrev_b16_e32 v106, 9, v30
	v_mul_lo_u16_e32 v30, 9, v106
	v_sub_u16_e32 v107, v72, v30
	v_lshlrev_b32_sdwa v30, v22, v107 dst_sel:DWORD dst_unused:UNUSED_PAD src0_sel:DWORD src1_sel:BYTE_0
	global_load_dwordx4 v[73:76], v30, s[8:9] offset:48
	v_mul_lo_u16_sdwa v30, v52, v19 dst_sel:DWORD dst_unused:UNUSED_PAD src0_sel:BYTE_0 src1_sel:DWORD
	v_lshrrev_b16_e32 v108, 9, v30
	v_mul_lo_u16_e32 v30, 9, v108
	v_sub_u16_e32 v109, v52, v30
	v_lshlrev_b32_sdwa v30, v22, v109 dst_sel:DWORD dst_unused:UNUSED_PAD src0_sel:DWORD src1_sel:BYTE_0
	global_load_dwordx4 v[77:80], v30, s[8:9] offset:48
	;; [unrolled: 6-line block ×4, first 2 shown]
	ds_read_b32 v19, v0 offset:6552
	ds_read2_b32 v[30:31], v68 offset0:112 offset1:175
	s_movk_i32 s4, 0x2f69
	s_waitcnt vmcnt(8)
	v_mul_f32_e32 v32, v101, v37
	s_waitcnt lgkmcnt(1)
	v_mul_f32_e32 v112, v19, v37
	v_fma_f32 v113, v19, v36, -v32
	v_mul_f32_e32 v19, v100, v35
	s_waitcnt lgkmcnt(0)
	v_mul_f32_e32 v114, v31, v35
	v_fma_f32 v115, v31, v34, -v19
	ds_read2_b32 v[31:32], v33 offset0:104 offset1:167
	s_waitcnt vmcnt(7)
	v_mul_f32_e32 v116, v30, v45
	v_mul_f32_e32 v19, v99, v45
	v_fmac_f32_e32 v114, v100, v34
	v_fmac_f32_e32 v116, v99, v44
	v_fma_f32 v44, v30, v44, -v19
	s_waitcnt lgkmcnt(0)
	v_mul_f32_e32 v45, v32, v47
	v_mul_f32_e32 v19, v98, v47
	ds_read2_b32 v[34:35], v65 offset0:114 offset1:177
	v_fmac_f32_e32 v45, v98, v46
	v_fma_f32 v46, v32, v46, -v19
	s_waitcnt vmcnt(6)
	v_mul_f32_e32 v47, v31, v51
	v_mul_f32_e32 v19, v97, v51
	v_fmac_f32_e32 v47, v97, v50
	v_fma_f32 v50, v31, v50, -v19
	ds_read2_b32 v[30:31], v66 offset0:106 offset1:169
	s_waitcnt lgkmcnt(1)
	v_mul_f32_e32 v51, v35, v49
	v_mul_f32_e32 v19, v96, v49
	v_fmac_f32_e32 v51, v96, v48
	v_fma_f32 v48, v35, v48, -v19
	s_waitcnt vmcnt(5)
	v_mul_f32_e32 v49, v34, v54
	v_mul_f32_e32 v19, v95, v54
	v_fmac_f32_e32 v49, v95, v53
	v_fma_f32 v53, v34, v53, -v19
	s_waitcnt lgkmcnt(0)
	v_mul_f32_e32 v54, v31, v56
	v_mul_f32_e32 v19, v94, v56
	v_fmac_f32_e32 v54, v94, v55
	v_fma_f32 v55, v31, v55, -v19
	ds_read2_b32 v[31:32], v23 offset0:116 offset1:179
	s_waitcnt vmcnt(4)
	v_mul_f32_e32 v56, v30, v63
	v_mul_f32_e32 v19, v93, v63
	v_fmac_f32_e32 v56, v93, v62
	v_fma_f32 v62, v30, v62, -v19
	s_waitcnt lgkmcnt(0)
	v_mul_f32_e32 v63, v32, v61
	v_mul_f32_e32 v19, v92, v61
	ds_read2_b32 v[34:35], v57 offset0:108 offset1:171
	v_fmac_f32_e32 v63, v92, v60
	v_fma_f32 v60, v32, v60, -v19
	s_waitcnt vmcnt(3)
	v_mul_f32_e32 v61, v31, v74
	v_mul_f32_e32 v19, v91, v74
	v_fmac_f32_e32 v61, v91, v73
	v_fma_f32 v73, v31, v73, -v19
	ds_read2_b32 v[30:31], v59 offset0:118 offset1:181
	s_waitcnt lgkmcnt(1)
	v_mul_f32_e32 v74, v35, v76
	v_mul_f32_e32 v19, v90, v76
	v_fmac_f32_e32 v74, v90, v75
	v_fma_f32 v75, v35, v75, -v19
	s_waitcnt vmcnt(2)
	v_mul_f32_e32 v76, v34, v80
	v_mul_f32_e32 v19, v89, v80
	v_fmac_f32_e32 v76, v89, v79
	v_fma_f32 v79, v34, v79, -v19
	s_waitcnt lgkmcnt(0)
	v_mul_f32_e32 v80, v31, v78
	v_mul_f32_e32 v19, v70, v78
	v_fmac_f32_e32 v80, v70, v77
	v_fma_f32 v77, v31, v77, -v19
	ds_read2_b32 v[31:32], v41 offset0:110 offset1:173
	s_waitcnt vmcnt(1)
	v_mul_f32_e32 v78, v30, v82
	v_mul_f32_e32 v19, v69, v82
	v_fmac_f32_e32 v78, v69, v81
	v_fma_f32 v81, v30, v81, -v19
	s_waitcnt lgkmcnt(0)
	v_mul_f32_e32 v82, v32, v84
	v_fmac_f32_e32 v82, v18, v83
	v_mul_f32_e32 v18, v18, v84
	v_fma_f32 v32, v32, v83, -v18
	ds_read2_b32 v[18:19], v43 offset0:120 offset1:183
	s_waitcnt vmcnt(0)
	v_mul_f32_e32 v69, v31, v88
	v_lshlrev_b32_sdwa v30, v29, v39 dst_sel:DWORD dst_unused:UNUSED_PAD src0_sel:DWORD src1_sel:BYTE_0
	v_fmac_f32_e32 v69, v17, v87
	v_mul_f32_e32 v17, v17, v88
	s_waitcnt lgkmcnt(0)
	v_mul_f32_e32 v70, v19, v86
	v_fmac_f32_e32 v70, v6, v85
	v_mul_f32_e32 v6, v6, v86
	v_fma_f32 v6, v19, v85, -v6
	v_mul_u32_u24_e32 v19, 0x6c, v38
	v_add3_u32 v19, 0, v19, v30
	v_add_f32_e32 v30, v13, v70
	v_add_f32_e32 v83, v30, v69
	;; [unrolled: 1-line block ×3, first 2 shown]
	v_fma_f32 v17, v31, v87, -v17
	v_fma_f32 v13, -0.5, v30, v13
	v_sub_f32_e32 v84, v6, v17
	v_mov_b32_e32 v85, v13
	v_fmac_f32_e32 v85, 0xbf5db3d7, v84
	v_fmac_f32_e32 v13, 0x3f5db3d7, v84
	v_add_f32_e32 v84, v78, v82
	v_fmac_f32_e32 v112, v101, v36
	ds_read2_b32 v[30:31], v0 offset1:63
	ds_read2_b32 v[34:35], v0 offset0:126 offset1:189
	ds_read2_b32 v[36:37], v21 offset0:124 offset1:187
	ds_read2_b32 v[38:39], v67 offset0:122 offset1:185
	s_waitcnt lgkmcnt(0)
	; wave barrier
	s_waitcnt lgkmcnt(0)
	ds_write2_b32 v19, v83, v85 offset1:9
	v_add_f32_e32 v83, v14, v78
	v_fmac_f32_e32 v14, -0.5, v84
	ds_write_b32 v19, v13 offset:72
	v_mul_u32_u24_e32 v13, 0x6c, v110
	v_lshlrev_b32_sdwa v84, v29, v111 dst_sel:DWORD dst_unused:UNUSED_PAD src0_sel:DWORD src1_sel:BYTE_0
	v_add3_u32 v84, 0, v13, v84
	v_add_f32_e32 v13, v83, v82
	v_sub_f32_e32 v83, v81, v32
	v_mov_b32_e32 v85, v14
	v_fmac_f32_e32 v85, 0xbf5db3d7, v83
	v_fmac_f32_e32 v14, 0x3f5db3d7, v83
	ds_write2_b32 v84, v13, v85 offset1:9
	ds_write_b32 v84, v14 offset:72
	v_mul_u32_u24_e32 v13, 0x6c, v108
	v_lshlrev_b32_sdwa v14, v29, v109 dst_sel:DWORD dst_unused:UNUSED_PAD src0_sel:DWORD src1_sel:BYTE_0
	v_add3_u32 v83, 0, v13, v14
	v_add_f32_e32 v14, v80, v76
	v_add_f32_e32 v13, v11, v80
	v_fma_f32 v11, -0.5, v14, v11
	v_sub_f32_e32 v14, v77, v79
	v_mov_b32_e32 v85, v11
	v_add_f32_e32 v13, v13, v76
	v_fmac_f32_e32 v85, 0xbf5db3d7, v14
	v_fmac_f32_e32 v11, 0x3f5db3d7, v14
	v_add_f32_e32 v14, v61, v74
	ds_write2_b32 v83, v13, v85 offset1:9
	v_add_f32_e32 v13, v12, v61
	v_fmac_f32_e32 v12, -0.5, v14
	ds_write_b32 v83, v11 offset:72
	v_mul_u32_u24_e32 v11, 0x6c, v106
	v_lshlrev_b32_sdwa v14, v29, v107 dst_sel:DWORD dst_unused:UNUSED_PAD src0_sel:DWORD src1_sel:BYTE_0
	v_add3_u32 v85, 0, v11, v14
	v_add_f32_e32 v11, v13, v74
	v_sub_f32_e32 v13, v73, v75
	v_mov_b32_e32 v14, v12
	v_fmac_f32_e32 v14, 0xbf5db3d7, v13
	v_fmac_f32_e32 v12, 0x3f5db3d7, v13
	ds_write2_b32 v85, v11, v14 offset1:9
	ds_write_b32 v85, v12 offset:72
	v_mul_u32_u24_e32 v11, 0x6c, v104
	v_lshlrev_b32_e32 v12, 2, v105
	v_add3_u32 v86, 0, v11, v12
	v_add_f32_e32 v12, v63, v56
	v_add_f32_e32 v11, v9, v63
	v_fma_f32 v9, -0.5, v12, v9
	v_sub_f32_e32 v12, v60, v62
	v_mov_b32_e32 v13, v9
	v_add_f32_e32 v11, v11, v56
	v_fmac_f32_e32 v13, 0xbf5db3d7, v12
	v_fmac_f32_e32 v9, 0x3f5db3d7, v12
	v_add_f32_e32 v12, v49, v54
	ds_write2_b32 v86, v11, v13 offset1:9
	v_add_f32_e32 v11, v10, v49
	v_fmac_f32_e32 v10, -0.5, v12
	ds_write_b32 v86, v9 offset:72
	v_mul_u32_u24_e32 v9, 0x6c, v102
	v_lshlrev_b32_e32 v12, 2, v103
	v_add3_u32 v87, 0, v9, v12
	v_add_f32_e32 v9, v11, v54
	v_sub_f32_e32 v11, v53, v55
	v_mov_b32_e32 v12, v10
	v_fmac_f32_e32 v12, 0xbf5db3d7, v11
	v_fmac_f32_e32 v10, 0x3f5db3d7, v11
	ds_write2_b32 v87, v9, v12 offset1:9
	ds_write_b32 v87, v10 offset:72
	v_mul_u32_u24_e32 v9, 0x6c, v58
	v_lshlrev_b32_e32 v10, 2, v64
	v_add3_u32 v58, 0, v9, v10
	v_add_f32_e32 v10, v51, v47
	v_add_f32_e32 v9, v7, v51
	v_fma_f32 v7, -0.5, v10, v7
	v_sub_f32_e32 v10, v48, v50
	v_mov_b32_e32 v11, v7
	v_add_f32_e32 v9, v9, v47
	v_fmac_f32_e32 v11, 0xbf5db3d7, v10
	v_fmac_f32_e32 v7, 0x3f5db3d7, v10
	v_add_f32_e32 v10, v116, v45
	ds_write2_b32 v58, v9, v11 offset1:9
	v_add_f32_e32 v9, v8, v116
	v_fmac_f32_e32 v8, -0.5, v10
	ds_write_b32 v58, v7 offset:72
	v_mul_u32_u24_e32 v7, 0x6c, v40
	v_lshlrev_b32_e32 v10, 2, v42
	v_add3_u32 v40, 0, v7, v10
	v_add_f32_e32 v7, v9, v45
	v_sub_f32_e32 v9, v44, v46
	v_mov_b32_e32 v10, v8
	v_fmac_f32_e32 v8, 0x3f5db3d7, v9
	v_fmac_f32_e32 v10, 0xbf5db3d7, v9
	ds_write_b32 v40, v8 offset:72
	v_add_f32_e32 v8, v114, v112
	ds_write2_b32 v40, v7, v10 offset1:9
	v_add_f32_e32 v7, v5, v114
	v_fmac_f32_e32 v5, -0.5, v8
	v_mul_u32_u24_e32 v8, 0x6c, v15
	v_lshlrev_b32_e32 v9, 2, v16
	v_add3_u32 v15, 0, v8, v9
	v_sub_f32_e32 v8, v115, v113
	v_mov_b32_e32 v9, v5
	v_fmac_f32_e32 v5, 0x3f5db3d7, v8
	ds_write_b32 v15, v5 offset:72
	v_add_f32_e32 v5, v30, v6
	v_add_f32_e32 v16, v5, v17
	;; [unrolled: 1-line block ×3, first 2 shown]
	v_fma_f32 v30, -0.5, v5, v30
	v_sub_f32_e32 v17, v70, v69
	v_mov_b32_e32 v42, v30
	v_add_f32_e32 v7, v7, v112
	v_fmac_f32_e32 v9, 0xbf5db3d7, v8
	v_fmac_f32_e32 v42, 0x3f5db3d7, v17
	;; [unrolled: 1-line block ×3, first 2 shown]
	v_add_f32_e32 v17, v81, v32
	ds_write2_b32 v15, v7, v9 offset1:9
	s_waitcnt lgkmcnt(0)
	; wave barrier
	s_waitcnt lgkmcnt(0)
	ds_read_b32 v64, v0 offset:6552
	ds_read2_b32 v[13:14], v0 offset1:63
	ds_read2_b32 v[5:6], v43 offset0:120 offset1:183
	ds_read2_b32 v[69:70], v41 offset0:110 offset1:173
	;; [unrolled: 1-line block ×12, first 2 shown]
	s_waitcnt lgkmcnt(0)
	; wave barrier
	s_waitcnt lgkmcnt(0)
	ds_write2_b32 v19, v16, v42 offset1:9
	v_add_f32_e32 v16, v31, v81
	v_fmac_f32_e32 v31, -0.5, v17
	ds_write_b32 v19, v30 offset:72
	v_sub_f32_e32 v17, v78, v82
	v_mov_b32_e32 v19, v31
	v_add_f32_e32 v16, v16, v32
	v_fmac_f32_e32 v19, 0x3f5db3d7, v17
	v_fmac_f32_e32 v31, 0xbf5db3d7, v17
	v_add_f32_e32 v17, v77, v79
	ds_write2_b32 v84, v16, v19 offset1:9
	v_sub_f32_e32 v19, v80, v76
	v_fma_f32 v17, -0.5, v17, v34
	v_add_f32_e32 v16, v34, v77
	v_mov_b32_e32 v30, v17
	v_fmac_f32_e32 v17, 0xbf5db3d7, v19
	ds_write_b32 v84, v31 offset:72
	v_add_f32_e32 v16, v16, v79
	v_fmac_f32_e32 v30, 0x3f5db3d7, v19
	ds_write_b32 v83, v17 offset:72
	v_add_f32_e32 v17, v73, v75
	ds_write2_b32 v83, v16, v30 offset1:9
	v_add_f32_e32 v16, v35, v73
	v_fmac_f32_e32 v35, -0.5, v17
	v_sub_f32_e32 v17, v61, v74
	v_mov_b32_e32 v19, v35
	v_add_f32_e32 v16, v16, v75
	v_fmac_f32_e32 v19, 0x3f5db3d7, v17
	v_fmac_f32_e32 v35, 0xbf5db3d7, v17
	v_add_f32_e32 v17, v60, v62
	ds_write2_b32 v85, v16, v19 offset1:9
	v_sub_f32_e32 v19, v63, v56
	v_fma_f32 v17, -0.5, v17, v36
	v_add_f32_e32 v16, v36, v60
	v_mov_b32_e32 v30, v17
	v_fmac_f32_e32 v17, 0xbf5db3d7, v19
	ds_write_b32 v85, v35 offset:72
	v_add_f32_e32 v16, v16, v62
	v_fmac_f32_e32 v30, 0x3f5db3d7, v19
	ds_write_b32 v86, v17 offset:72
	v_add_f32_e32 v17, v53, v55
	ds_write2_b32 v86, v16, v30 offset1:9
	v_add_f32_e32 v16, v37, v53
	v_fmac_f32_e32 v37, -0.5, v17
	;; [unrolled: 20-line block ×3, first 2 shown]
	v_sub_f32_e32 v17, v116, v45
	v_mov_b32_e32 v19, v39
	v_add_f32_e32 v30, v115, v113
	v_fmac_f32_e32 v19, 0x3f5db3d7, v17
	v_fmac_f32_e32 v39, 0xbf5db3d7, v17
	v_add_f32_e32 v17, v18, v115
	v_fmac_f32_e32 v18, -0.5, v30
	v_add_f32_e32 v16, v16, v46
	v_sub_f32_e32 v30, v114, v112
	v_mov_b32_e32 v31, v18
	v_add_f32_e32 v17, v17, v113
	v_fmac_f32_e32 v31, 0x3f5db3d7, v30
	v_fmac_f32_e32 v18, 0xbf5db3d7, v30
	ds_write2_b32 v40, v16, v19 offset1:9
	ds_write_b32 v40, v39 offset:72
	ds_write2_b32 v15, v17, v31 offset1:9
	ds_write_b32 v15, v18 offset:72
	v_mul_u32_u24_sdwa v15, v25, s4 dst_sel:DWORD dst_unused:UNUSED_PAD src0_sel:WORD_0 src1_sel:DWORD
	v_sub_u16_sdwa v16, v25, v15 dst_sel:DWORD dst_unused:UNUSED_PAD src0_sel:DWORD src1_sel:WORD_1
	v_lshrrev_b16_e32 v16, 1, v16
	v_add_u16_sdwa v15, v16, v15 dst_sel:DWORD dst_unused:UNUSED_PAD src0_sel:DWORD src1_sel:WORD_1
	v_lshrrev_b16_e32 v15, 4, v15
	v_mul_lo_u16_e32 v16, 27, v15
	v_sub_u16_e32 v16, v25, v16
	v_lshlrev_b32_e32 v17, 4, v16
	s_waitcnt lgkmcnt(0)
	; wave barrier
	s_waitcnt lgkmcnt(0)
	global_load_dwordx4 v[34:37], v17, s[8:9] offset:192
	v_mul_u32_u24_sdwa v17, v27, s4 dst_sel:DWORD dst_unused:UNUSED_PAD src0_sel:WORD_0 src1_sel:DWORD
	v_sub_u16_sdwa v18, v27, v17 dst_sel:DWORD dst_unused:UNUSED_PAD src0_sel:DWORD src1_sel:WORD_1
	v_lshrrev_b16_e32 v18, 1, v18
	v_add_u16_sdwa v17, v18, v17 dst_sel:DWORD dst_unused:UNUSED_PAD src0_sel:DWORD src1_sel:WORD_1
	v_lshrrev_b16_e32 v40, 4, v17
	v_mul_lo_u16_e32 v17, 27, v40
	v_sub_u16_e32 v42, v27, v17
	v_lshlrev_b32_e32 v17, 4, v42
	global_load_dwordx4 v[44:47], v17, s[8:9] offset:192
	v_mul_u32_u24_sdwa v17, v20, s4 dst_sel:DWORD dst_unused:UNUSED_PAD src0_sel:WORD_0 src1_sel:DWORD
	v_sub_u16_sdwa v18, v20, v17 dst_sel:DWORD dst_unused:UNUSED_PAD src0_sel:DWORD src1_sel:WORD_1
	v_lshrrev_b16_e32 v18, 1, v18
	v_add_u16_sdwa v17, v18, v17 dst_sel:DWORD dst_unused:UNUSED_PAD src0_sel:DWORD src1_sel:WORD_1
	v_lshrrev_b16_e32 v58, 4, v17
	v_mul_lo_u16_e32 v17, 27, v58
	v_sub_u16_e32 v103, v20, v17
	v_lshlrev_b32_e32 v17, 4, v103
	;; [unrolled: 9-line block ×4, first 2 shown]
	global_load_dwordx4 v[60:63], v17, s[8:9] offset:192
	v_mov_b32_e32 v17, 19
	v_mul_lo_u16_sdwa v18, v72, v17 dst_sel:DWORD dst_unused:UNUSED_PAD src0_sel:BYTE_0 src1_sel:DWORD
	v_lshrrev_b16_e32 v108, 9, v18
	v_mul_lo_u16_e32 v18, 27, v108
	v_sub_u16_e32 v109, v72, v18
	v_lshlrev_b32_sdwa v18, v22, v109 dst_sel:DWORD dst_unused:UNUSED_PAD src0_sel:DWORD src1_sel:BYTE_0
	global_load_dwordx4 v[73:76], v18, s[8:9] offset:192
	v_mul_lo_u16_sdwa v18, v52, v17 dst_sel:DWORD dst_unused:UNUSED_PAD src0_sel:BYTE_0 src1_sel:DWORD
	v_lshrrev_b16_e32 v110, 9, v18
	v_mul_lo_u16_e32 v18, 27, v110
	v_sub_u16_e32 v111, v52, v18
	v_lshlrev_b32_sdwa v18, v22, v111 dst_sel:DWORD dst_unused:UNUSED_PAD src0_sel:DWORD src1_sel:BYTE_0
	global_load_dwordx4 v[77:80], v18, s[8:9] offset:192
	;; [unrolled: 6-line block ×4, first 2 shown]
	ds_read_b32 v19, v0 offset:6552
	ds_read2_b32 v[17:18], v68 offset0:112 offset1:175
	s_movk_i32 s4, 0x6523
	s_waitcnt vmcnt(8) lgkmcnt(1)
	v_mul_f32_e32 v114, v19, v37
	v_mul_f32_e32 v30, v64, v37
	v_fmac_f32_e32 v114, v64, v36
	v_fma_f32 v64, v19, v36, -v30
	s_waitcnt lgkmcnt(0)
	v_mul_f32_e32 v115, v18, v35
	v_mul_f32_e32 v19, v102, v35
	v_fmac_f32_e32 v115, v102, v34
	v_fma_f32 v102, v18, v34, -v19
	ds_read2_b32 v[18:19], v33 offset0:104 offset1:167
	s_waitcnt vmcnt(7)
	v_mul_f32_e32 v116, v17, v45
	v_mul_f32_e32 v30, v101, v45
	v_fmac_f32_e32 v116, v101, v44
	v_fma_f32 v44, v17, v44, -v30
	ds_read2_b32 v[30:31], v65 offset0:114 offset1:177
	s_waitcnt lgkmcnt(1)
	v_mul_f32_e32 v45, v19, v47
	v_mul_f32_e32 v17, v100, v47
	v_fmac_f32_e32 v45, v100, v46
	v_fma_f32 v46, v19, v46, -v17
	s_waitcnt vmcnt(6)
	v_mul_f32_e32 v47, v18, v51
	v_mul_f32_e32 v17, v99, v51
	v_fmac_f32_e32 v47, v99, v50
	v_fma_f32 v50, v18, v50, -v17
	s_waitcnt lgkmcnt(0)
	v_mul_f32_e32 v51, v31, v49
	v_mul_f32_e32 v17, v98, v49
	v_fmac_f32_e32 v51, v98, v48
	v_fma_f32 v48, v31, v48, -v17
	ds_read2_b32 v[17:18], v66 offset0:106 offset1:169
	s_waitcnt vmcnt(5)
	v_mul_f32_e32 v19, v97, v54
	v_fma_f32 v100, v30, v53, -v19
	v_mul_f32_e32 v19, v96, v56
	v_mul_f32_e32 v49, v30, v54
	s_waitcnt lgkmcnt(0)
	v_mul_f32_e32 v101, v18, v56
	v_fma_f32 v117, v18, v55, -v19
	ds_read2_b32 v[18:19], v23 offset0:116 offset1:179
	v_fmac_f32_e32 v49, v97, v53
	v_fmac_f32_e32 v101, v96, v55
	s_waitcnt vmcnt(4)
	v_mul_f32_e32 v118, v17, v63
	v_mul_f32_e32 v30, v95, v63
	v_fmac_f32_e32 v118, v95, v62
	v_fma_f32 v62, v17, v62, -v30
	ds_read2_b32 v[30:31], v57 offset0:108 offset1:171
	s_waitcnt lgkmcnt(1)
	v_mul_f32_e32 v63, v19, v61
	v_mul_f32_e32 v17, v94, v61
	v_fmac_f32_e32 v63, v94, v60
	v_fma_f32 v60, v19, v60, -v17
	s_waitcnt vmcnt(3)
	v_mul_f32_e32 v61, v18, v74
	v_mul_f32_e32 v17, v93, v74
	v_fmac_f32_e32 v61, v93, v73
	v_fma_f32 v73, v18, v73, -v17
	s_waitcnt lgkmcnt(0)
	v_mul_f32_e32 v74, v31, v76
	v_mul_f32_e32 v17, v92, v76
	v_fmac_f32_e32 v74, v92, v75
	v_fma_f32 v75, v31, v75, -v17
	ds_read2_b32 v[17:18], v59 offset0:118 offset1:181
	s_waitcnt vmcnt(2)
	v_mul_f32_e32 v76, v30, v80
	v_mul_f32_e32 v19, v91, v80
	v_fmac_f32_e32 v76, v91, v79
	v_fma_f32 v79, v30, v79, -v19
	s_waitcnt lgkmcnt(0)
	v_mul_f32_e32 v80, v18, v78
	v_mul_f32_e32 v19, v90, v78
	v_fmac_f32_e32 v80, v90, v77
	v_fma_f32 v77, v18, v77, -v19
	ds_read2_b32 v[18:19], v41 offset0:110 offset1:173
	s_waitcnt vmcnt(1)
	v_mul_f32_e32 v78, v17, v82
	v_mul_f32_e32 v30, v89, v82
	v_fmac_f32_e32 v78, v89, v81
	v_fma_f32 v81, v17, v81, -v30
	ds_read2_b32 v[30:31], v43 offset0:120 offset1:183
	s_waitcnt lgkmcnt(1)
	v_mul_f32_e32 v82, v19, v84
	v_mul_f32_e32 v17, v70, v84
	v_fmac_f32_e32 v82, v70, v83
	v_fma_f32 v83, v19, v83, -v17
	s_waitcnt vmcnt(0)
	v_mul_f32_e32 v19, v69, v88
	v_mul_f32_e32 v17, v18, v88
	v_fma_f32 v18, v18, v87, -v19
	s_waitcnt lgkmcnt(0)
	v_mul_f32_e32 v19, v31, v86
	v_fmac_f32_e32 v19, v6, v85
	v_mul_f32_e32 v6, v6, v86
	v_fma_f32 v6, v31, v85, -v6
	v_mul_u32_u24_e32 v31, 0x144, v32
	v_lshlrev_b32_sdwa v32, v29, v38 dst_sel:DWORD dst_unused:UNUSED_PAD src0_sel:DWORD src1_sel:BYTE_0
	v_fmac_f32_e32 v17, v69, v87
	v_add3_u32 v84, 0, v31, v32
	v_add_f32_e32 v31, v13, v19
	v_add_f32_e32 v53, v31, v17
	;; [unrolled: 1-line block ×3, first 2 shown]
	v_fma_f32 v13, -0.5, v31, v13
	v_sub_f32_e32 v54, v6, v18
	v_mov_b32_e32 v55, v13
	v_fmac_f32_e32 v55, 0xbf5db3d7, v54
	v_fmac_f32_e32 v13, 0x3f5db3d7, v54
	v_add_f32_e32 v54, v78, v82
	ds_read2_b32 v[31:32], v0 offset1:63
	ds_read2_b32 v[34:35], v0 offset0:126 offset1:189
	ds_read2_b32 v[36:37], v21 offset0:124 offset1:187
	;; [unrolled: 1-line block ×3, first 2 shown]
	s_waitcnt lgkmcnt(0)
	; wave barrier
	s_waitcnt lgkmcnt(0)
	ds_write2_b32 v84, v53, v55 offset1:27
	v_add_f32_e32 v53, v14, v78
	v_fmac_f32_e32 v14, -0.5, v54
	ds_write_b32 v84, v13 offset:216
	v_mul_u32_u24_e32 v13, 0x144, v112
	v_lshlrev_b32_sdwa v54, v29, v113 dst_sel:DWORD dst_unused:UNUSED_PAD src0_sel:DWORD src1_sel:BYTE_0
	v_add3_u32 v85, 0, v13, v54
	v_add_f32_e32 v13, v53, v82
	v_sub_f32_e32 v53, v81, v83
	v_mov_b32_e32 v54, v14
	v_fmac_f32_e32 v54, 0xbf5db3d7, v53
	v_fmac_f32_e32 v14, 0x3f5db3d7, v53
	ds_write2_b32 v85, v13, v54 offset1:27
	ds_write_b32 v85, v14 offset:216
	v_mul_u32_u24_e32 v13, 0x144, v110
	v_lshlrev_b32_sdwa v14, v29, v111 dst_sel:DWORD dst_unused:UNUSED_PAD src0_sel:DWORD src1_sel:BYTE_0
	v_add3_u32 v86, 0, v13, v14
	v_add_f32_e32 v14, v80, v76
	v_add_f32_e32 v13, v11, v80
	v_fma_f32 v11, -0.5, v14, v11
	v_sub_f32_e32 v14, v77, v79
	v_mov_b32_e32 v53, v11
	v_add_f32_e32 v13, v13, v76
	v_fmac_f32_e32 v53, 0xbf5db3d7, v14
	v_fmac_f32_e32 v11, 0x3f5db3d7, v14
	v_add_f32_e32 v14, v61, v74
	ds_write2_b32 v86, v13, v53 offset1:27
	v_add_f32_e32 v13, v12, v61
	v_fmac_f32_e32 v12, -0.5, v14
	ds_write_b32 v86, v11 offset:216
	v_mul_u32_u24_e32 v11, 0x144, v108
	v_lshlrev_b32_sdwa v14, v29, v109 dst_sel:DWORD dst_unused:UNUSED_PAD src0_sel:DWORD src1_sel:BYTE_0
	v_add3_u32 v11, 0, v11, v14
	v_sub_f32_e32 v14, v73, v75
	v_mov_b32_e32 v53, v12
	v_add_f32_e32 v13, v13, v74
	v_fmac_f32_e32 v53, 0xbf5db3d7, v14
	v_fmac_f32_e32 v12, 0x3f5db3d7, v14
	ds_write2_b32 v11, v13, v53 offset1:27
	ds_write_b32 v11, v12 offset:216
	v_mul_u32_u24_e32 v12, 0x144, v106
	v_lshlrev_b32_e32 v13, 2, v107
	v_add3_u32 v87, 0, v12, v13
	v_add_f32_e32 v13, v63, v118
	v_add_f32_e32 v12, v9, v63
	v_fma_f32 v9, -0.5, v13, v9
	v_sub_f32_e32 v13, v60, v62
	v_mov_b32_e32 v14, v9
	v_add_f32_e32 v12, v12, v118
	v_fmac_f32_e32 v14, 0xbf5db3d7, v13
	v_fmac_f32_e32 v9, 0x3f5db3d7, v13
	v_add_f32_e32 v13, v49, v101
	ds_write2_b32 v87, v12, v14 offset1:27
	v_add_f32_e32 v12, v10, v49
	v_fmac_f32_e32 v10, -0.5, v13
	ds_write_b32 v87, v9 offset:216
	v_mul_u32_u24_e32 v9, 0x144, v104
	v_lshlrev_b32_e32 v13, 2, v105
	v_add3_u32 v88, 0, v9, v13
	v_add_f32_e32 v9, v12, v101
	v_sub_f32_e32 v12, v100, v117
	v_mov_b32_e32 v13, v10
	v_fmac_f32_e32 v13, 0xbf5db3d7, v12
	v_fmac_f32_e32 v10, 0x3f5db3d7, v12
	ds_write2_b32 v88, v9, v13 offset1:27
	ds_write_b32 v88, v10 offset:216
	v_mul_u32_u24_e32 v9, 0x144, v58
	v_lshlrev_b32_e32 v10, 2, v103
	v_add3_u32 v58, 0, v9, v10
	v_add_f32_e32 v10, v51, v47
	v_add_f32_e32 v9, v7, v51
	v_fma_f32 v7, -0.5, v10, v7
	v_sub_f32_e32 v10, v48, v50
	v_mov_b32_e32 v12, v7
	v_add_f32_e32 v9, v9, v47
	v_fmac_f32_e32 v12, 0xbf5db3d7, v10
	v_fmac_f32_e32 v7, 0x3f5db3d7, v10
	v_add_f32_e32 v10, v116, v45
	ds_write2_b32 v58, v9, v12 offset1:27
	v_add_f32_e32 v9, v8, v116
	v_fmac_f32_e32 v8, -0.5, v10
	ds_write_b32 v58, v7 offset:216
	v_mul_u32_u24_e32 v7, 0x144, v40
	v_lshlrev_b32_e32 v10, 2, v42
	v_add3_u32 v40, 0, v7, v10
	v_add_f32_e32 v7, v9, v45
	v_sub_f32_e32 v9, v44, v46
	v_mov_b32_e32 v10, v8
	v_fmac_f32_e32 v8, 0x3f5db3d7, v9
	v_fmac_f32_e32 v10, 0xbf5db3d7, v9
	ds_write_b32 v40, v8 offset:216
	v_add_f32_e32 v8, v115, v114
	ds_write2_b32 v40, v7, v10 offset1:27
	v_add_f32_e32 v7, v5, v115
	v_fmac_f32_e32 v5, -0.5, v8
	v_mul_u32_u24_e32 v8, 0x144, v15
	v_lshlrev_b32_e32 v9, 2, v16
	v_add3_u32 v42, 0, v8, v9
	v_sub_f32_e32 v8, v102, v64
	v_mov_b32_e32 v9, v5
	v_fmac_f32_e32 v5, 0x3f5db3d7, v8
	ds_write_b32 v42, v5 offset:216
	v_add_f32_e32 v5, v31, v6
	v_add_f32_e32 v91, v5, v18
	v_add_f32_e32 v5, v6, v18
	v_sub_f32_e32 v92, v19, v17
	v_fma_f32 v31, -0.5, v5, v31
	v_add_f32_e32 v7, v7, v114
	v_fmac_f32_e32 v9, 0xbf5db3d7, v8
	v_mov_b32_e32 v93, v31
	v_fmac_f32_e32 v31, 0xbf5db3d7, v92
	ds_write2_b32 v42, v7, v9 offset1:27
	s_waitcnt lgkmcnt(0)
	; wave barrier
	s_waitcnt lgkmcnt(0)
	ds_read_b32 v103, v0 offset:6552
	ds_read2_b32 v[16:17], v0 offset1:63
	ds_read2_b32 v[5:6], v43 offset0:120 offset1:183
	ds_read2_b32 v[18:19], v41 offset0:110 offset1:173
	;; [unrolled: 1-line block ×12, first 2 shown]
	s_waitcnt lgkmcnt(0)
	; wave barrier
	s_waitcnt lgkmcnt(0)
	ds_write_b32 v84, v31 offset:216
	v_add_f32_e32 v31, v32, v81
	v_add_f32_e32 v81, v81, v83
	v_fmac_f32_e32 v32, -0.5, v81
	v_sub_f32_e32 v78, v78, v82
	v_fmac_f32_e32 v93, 0x3f5db3d7, v92
	v_mov_b32_e32 v81, v32
	v_fmac_f32_e32 v32, 0xbf5db3d7, v78
	ds_write2_b32 v84, v91, v93 offset1:27
	ds_write_b32 v85, v32 offset:216
	v_add_f32_e32 v32, v77, v79
	v_add_f32_e32 v31, v31, v83
	v_fmac_f32_e32 v81, 0x3f5db3d7, v78
	v_sub_f32_e32 v76, v80, v76
	v_fma_f32 v32, -0.5, v32, v34
	ds_write2_b32 v85, v31, v81 offset1:27
	v_add_f32_e32 v31, v34, v77
	v_mov_b32_e32 v34, v32
	v_fmac_f32_e32 v32, 0xbf5db3d7, v76
	v_add_f32_e32 v31, v31, v79
	v_fmac_f32_e32 v34, 0x3f5db3d7, v76
	ds_write_b32 v86, v32 offset:216
	v_add_f32_e32 v32, v73, v75
	ds_write2_b32 v86, v31, v34 offset1:27
	v_add_f32_e32 v31, v35, v73
	v_fmac_f32_e32 v35, -0.5, v32
	v_sub_f32_e32 v32, v61, v74
	v_mov_b32_e32 v34, v35
	v_add_f32_e32 v31, v31, v75
	v_fmac_f32_e32 v34, 0x3f5db3d7, v32
	ds_write2_b32 v11, v31, v34 offset1:27
	v_add_f32_e32 v31, v60, v62
	v_fmac_f32_e32 v35, 0xbf5db3d7, v32
	v_sub_f32_e32 v32, v63, v118
	v_fma_f32 v31, -0.5, v31, v36
	ds_write_b32 v11, v35 offset:216
	v_add_f32_e32 v11, v36, v60
	v_mov_b32_e32 v34, v31
	v_fmac_f32_e32 v31, 0xbf5db3d7, v32
	v_add_f32_e32 v11, v11, v62
	v_fmac_f32_e32 v34, 0x3f5db3d7, v32
	ds_write_b32 v87, v31 offset:216
	v_add_f32_e32 v31, v100, v117
	ds_write2_b32 v87, v11, v34 offset1:27
	v_add_f32_e32 v11, v37, v100
	v_fmac_f32_e32 v37, -0.5, v31
	v_sub_f32_e32 v31, v49, v101
	v_mov_b32_e32 v32, v37
	v_add_f32_e32 v11, v11, v117
	v_fmac_f32_e32 v32, 0x3f5db3d7, v31
	v_fmac_f32_e32 v37, 0xbf5db3d7, v31
	v_add_f32_e32 v31, v48, v50
	ds_write2_b32 v88, v11, v32 offset1:27
	v_sub_f32_e32 v32, v51, v47
	v_fma_f32 v31, -0.5, v31, v38
	v_add_f32_e32 v11, v38, v48
	v_mov_b32_e32 v34, v31
	v_fmac_f32_e32 v31, 0xbf5db3d7, v32
	ds_write_b32 v88, v37 offset:216
	v_add_f32_e32 v11, v11, v50
	v_fmac_f32_e32 v34, 0x3f5db3d7, v32
	ds_write_b32 v58, v31 offset:216
	v_add_f32_e32 v31, v44, v46
	ds_write2_b32 v58, v11, v34 offset1:27
	v_add_f32_e32 v11, v39, v44
	v_fmac_f32_e32 v39, -0.5, v31
	v_sub_f32_e32 v31, v116, v45
	v_mov_b32_e32 v32, v39
	v_add_f32_e32 v34, v102, v64
	v_fmac_f32_e32 v32, 0x3f5db3d7, v31
	v_fmac_f32_e32 v39, 0xbf5db3d7, v31
	v_add_f32_e32 v31, v30, v102
	v_fmac_f32_e32 v30, -0.5, v34
	v_add_f32_e32 v11, v11, v46
	v_sub_f32_e32 v34, v115, v114
	v_mov_b32_e32 v35, v30
	v_add_f32_e32 v31, v31, v64
	v_fmac_f32_e32 v35, 0x3f5db3d7, v34
	v_fmac_f32_e32 v30, 0xbf5db3d7, v34
	ds_write2_b32 v40, v11, v32 offset1:27
	ds_write_b32 v40, v39 offset:216
	ds_write2_b32 v42, v31, v35 offset1:27
	ds_write_b32 v42, v30 offset:216
	v_mul_u32_u24_sdwa v11, v25, s4 dst_sel:DWORD dst_unused:UNUSED_PAD src0_sel:WORD_0 src1_sel:DWORD
	v_lshrrev_b32_e32 v11, 21, v11
	v_mul_lo_u16_e32 v11, 0x51, v11
	v_sub_u16_e32 v100, v25, v11
	v_lshlrev_b32_e32 v11, 4, v100
	s_waitcnt lgkmcnt(0)
	; wave barrier
	s_waitcnt lgkmcnt(0)
	global_load_dwordx4 v[34:37], v11, s[8:9] offset:624
	v_mul_u32_u24_sdwa v11, v27, s4 dst_sel:DWORD dst_unused:UNUSED_PAD src0_sel:WORD_0 src1_sel:DWORD
	v_lshrrev_b32_e32 v101, 21, v11
	v_mul_lo_u16_e32 v11, 0x51, v101
	v_sub_u16_e32 v102, v27, v11
	v_lshlrev_b32_e32 v11, 4, v102
	global_load_dwordx4 v[47:50], v11, s[8:9] offset:624
	v_mul_u32_u24_sdwa v11, v20, s4 dst_sel:DWORD dst_unused:UNUSED_PAD src0_sel:WORD_0 src1_sel:DWORD
	v_lshrrev_b32_e32 v104, 21, v11
	v_mul_lo_u16_e32 v11, 0x51, v104
	v_sub_u16_e32 v20, v20, v11
	v_lshlrev_b32_e32 v11, 4, v20
	;; [unrolled: 6-line block ×4, first 2 shown]
	s_movk_i32 s4, 0xcb
	global_load_dwordx4 v[77:80], v11, s[8:9] offset:624
	v_mul_lo_u16_sdwa v11, v72, s4 dst_sel:DWORD dst_unused:UNUSED_PAD src0_sel:BYTE_0 src1_sel:DWORD
	v_lshrrev_b16_e32 v107, 14, v11
	v_mul_lo_u16_e32 v11, 0x51, v107
	v_sub_u16_e32 v108, v72, v11
	v_mul_lo_u16_sdwa v24, v52, s4 dst_sel:DWORD dst_unused:UNUSED_PAD src0_sel:BYTE_0 src1_sel:DWORD
	v_lshlrev_b32_sdwa v11, v22, v108 dst_sel:DWORD dst_unused:UNUSED_PAD src0_sel:DWORD src1_sel:BYTE_0
	v_lshrrev_b16_e32 v109, 14, v24
	global_load_dwordx4 v[81:84], v11, s[8:9] offset:624
	v_mul_lo_u16_e32 v11, 0x51, v109
	v_sub_u16_e32 v110, v52, v11
	v_lshlrev_b32_sdwa v11, v22, v110 dst_sel:DWORD dst_unused:UNUSED_PAD src0_sel:DWORD src1_sel:BYTE_0
	global_load_dwordx4 v[85:88], v11, s[8:9] offset:624
	v_subrev_u32_e32 v11, 18, v71
	v_cndmask_b32_e32 v111, v11, v26, vcc
	v_lshlrev_b32_e32 v24, 1, v71
	v_mov_b32_e32 v25, 0
	v_lshlrev_b64 v[30:31], 3, v[24:25]
	v_lshlrev_b32_e32 v24, 1, v111
	v_lshlrev_b64 v[24:25], 3, v[24:25]
	v_mov_b32_e32 v11, s9
	v_add_co_u32_e32 v24, vcc, s8, v24
	v_addc_co_u32_e32 v25, vcc, v11, v25, vcc
	global_load_dwordx4 v[24:27], v[24:25], off offset:624
	v_add_co_u32_e32 v30, vcc, s8, v30
	v_addc_co_u32_e32 v31, vcc, v11, v31, vcc
	global_load_dwordx4 v[92:95], v[30:31], off offset:624
	ds_read2_b32 v[30:31], v68 offset0:112 offset1:175
	ds_read_b32 v11, v0 offset:6552
	v_cmp_lt_u32_e32 vcc, 17, v71
	v_lshl_add_u32 v100, v100, 2, 0
	s_waitcnt vmcnt(8)
	v_mul_f32_e32 v22, v103, v37
	s_waitcnt lgkmcnt(0)
	v_mul_f32_e32 v42, v11, v37
	v_fma_f32 v44, v11, v36, -v22
	v_mul_f32_e32 v11, v56, v35
	v_mul_f32_e32 v40, v31, v35
	v_fma_f32 v45, v31, v34, -v11
	ds_read2_b32 v[31:32], v33 offset0:104 offset1:167
	s_waitcnt vmcnt(7)
	v_mul_f32_e32 v46, v30, v48
	v_mul_f32_e32 v11, v55, v48
	v_fmac_f32_e32 v46, v55, v47
	v_fma_f32 v48, v30, v47, -v11
	s_waitcnt lgkmcnt(0)
	v_mul_f32_e32 v47, v32, v50
	v_mul_f32_e32 v11, v54, v50
	v_fmac_f32_e32 v47, v54, v49
	v_fma_f32 v49, v32, v49, -v11
	ds_read2_b32 v[32:33], v65 offset0:114 offset1:177
	s_waitcnt vmcnt(6)
	v_mul_f32_e32 v11, v53, v63
	v_mul_f32_e32 v50, v31, v63
	v_fma_f32 v54, v31, v62, -v11
	ds_read2_b32 v[30:31], v66 offset0:106 offset1:169
	v_mul_f32_e32 v11, v70, v61
	ds_read2_b32 v[22:23], v23 offset0:116 offset1:179
	s_waitcnt lgkmcnt(2)
	v_fma_f32 v55, v33, v60, -v11
	s_waitcnt vmcnt(5)
	v_mul_f32_e32 v11, v69, v74
	v_fmac_f32_e32 v40, v56, v34
	v_mul_f32_e32 v56, v32, v74
	v_fma_f32 v64, v32, v73, -v11
	v_mul_f32_e32 v11, v99, v76
	v_fmac_f32_e32 v56, v69, v73
	s_waitcnt lgkmcnt(1)
	v_mul_f32_e32 v58, v31, v76
	v_fma_f32 v69, v31, v75, -v11
	s_waitcnt vmcnt(4)
	v_mul_f32_e32 v11, v98, v80
	v_mul_f32_e32 v51, v33, v61
	v_fmac_f32_e32 v58, v99, v75
	v_fma_f32 v75, v30, v79, -v11
	v_mul_f32_e32 v11, v97, v78
	v_fmac_f32_e32 v51, v70, v60
	v_mul_f32_e32 v70, v30, v80
	s_waitcnt lgkmcnt(0)
	v_mul_f32_e32 v74, v23, v78
	v_fma_f32 v76, v23, v77, -v11
	ds_read2_b32 v[30:31], v57 offset0:108 offset1:171
	s_waitcnt vmcnt(3)
	v_mul_f32_e32 v11, v96, v82
	v_fmac_f32_e32 v70, v98, v79
	v_fmac_f32_e32 v74, v97, v77
	v_mul_f32_e32 v77, v22, v82
	v_fma_f32 v79, v22, v81, -v11
	ds_read2_b32 v[22:23], v59 offset0:118 offset1:181
	v_mul_f32_e32 v11, v90, v84
	s_waitcnt lgkmcnt(1)
	v_mul_f32_e32 v78, v31, v84
	v_fma_f32 v80, v31, v83, -v11
	s_waitcnt vmcnt(2)
	v_mul_f32_e32 v11, v89, v88
	v_fmac_f32_e32 v77, v96, v81
	v_fmac_f32_e32 v78, v90, v83
	v_mul_f32_e32 v81, v30, v88
	v_fma_f32 v83, v30, v87, -v11
	s_waitcnt lgkmcnt(0)
	v_mul_f32_e32 v82, v23, v86
	ds_read2_b32 v[30:31], v41 offset0:110 offset1:173
	v_fmac_f32_e32 v82, v10, v85
	v_mul_f32_e32 v10, v10, v86
	v_fma_f32 v84, v23, v85, -v10
	s_waitcnt vmcnt(1)
	v_mul_f32_e32 v85, v22, v25
	v_fmac_f32_e32 v85, v9, v24
	v_mul_f32_e32 v9, v9, v25
	v_fmac_f32_e32 v81, v89, v87
	v_fma_f32 v87, v22, v24, -v9
	v_mul_f32_e32 v9, v19, v27
	s_waitcnt lgkmcnt(0)
	v_fma_f32 v88, v31, v26, -v9
	ds_read2_b32 v[9:10], v43 offset0:120 offset1:183
	s_waitcnt vmcnt(0)
	v_mul_f32_e32 v89, v30, v95
	v_fmac_f32_e32 v89, v18, v94
	v_mul_f32_e32 v11, v18, v95
	v_fma_f32 v91, v30, v94, -v11
	s_waitcnt lgkmcnt(0)
	v_mul_f32_e32 v90, v10, v93
	v_fmac_f32_e32 v90, v6, v92
	v_mul_f32_e32 v6, v6, v93
	v_fma_f32 v92, v10, v92, -v6
	v_add_f32_e32 v10, v90, v89
	v_mul_f32_e32 v86, v31, v27
	v_add_f32_e32 v6, v16, v90
	v_fma_f32 v16, -0.5, v10, v16
	v_sub_f32_e32 v18, v92, v91
	v_fmac_f32_e32 v86, v19, v26
	v_mov_b32_e32 v19, v16
	v_fmac_f32_e32 v16, 0x3f5db3d7, v18
	v_fmac_f32_e32 v42, v103, v36
	v_add_f32_e32 v6, v6, v89
	v_fmac_f32_e32 v19, 0xbf5db3d7, v18
	ds_read2_b32 v[34:35], v21 offset0:124 offset1:187
	ds_read2_b32 v[38:39], v0 offset1:63
	ds_read2_b32 v[36:37], v0 offset0:126 offset1:189
	ds_read2_b32 v[10:11], v67 offset0:122 offset1:185
	s_waitcnt lgkmcnt(0)
	; wave barrier
	s_waitcnt lgkmcnt(0)
	v_add_f32_e32 v18, v85, v86
	ds_write_b32 v0, v16 offset:648
	v_mov_b32_e32 v16, 0x3cc
	ds_write2_b32 v0, v6, v19 offset1:81
	v_add_f32_e32 v6, v17, v85
	v_fmac_f32_e32 v17, -0.5, v18
	v_cndmask_b32_e32 v16, 0, v16, vcc
	v_lshlrev_b32_e32 v18, 2, v111
	v_add3_u32 v93, 0, v16, v18
	v_sub_f32_e32 v16, v87, v88
	v_mov_b32_e32 v18, v17
	v_add_f32_e32 v6, v6, v86
	v_fmac_f32_e32 v18, 0xbf5db3d7, v16
	ds_write2_b32 v93, v6, v18 offset1:81
	v_fmac_f32_e32 v17, 0x3f5db3d7, v16
	v_mul_u32_u24_e32 v6, 0x3cc, v109
	v_lshlrev_b32_sdwa v16, v29, v110 dst_sel:DWORD dst_unused:UNUSED_PAD src0_sel:DWORD src1_sel:BYTE_0
	ds_write_b32 v93, v17 offset:648
	v_add3_u32 v17, 0, v6, v16
	v_add_f32_e32 v16, v82, v81
	v_add_f32_e32 v6, v14, v82
	v_fma_f32 v14, -0.5, v16, v14
	v_sub_f32_e32 v16, v84, v83
	v_mov_b32_e32 v18, v14
	v_add_f32_e32 v6, v6, v81
	v_fmac_f32_e32 v18, 0xbf5db3d7, v16
	v_fmac_f32_e32 v14, 0x3f5db3d7, v16
	v_add_f32_e32 v16, v77, v78
	ds_write2_b32 v17, v6, v18 offset1:81
	v_add_f32_e32 v6, v15, v77
	v_fmac_f32_e32 v15, -0.5, v16
	ds_write_b32 v17, v14 offset:648
	v_lshlrev_b32_sdwa v14, v29, v108 dst_sel:DWORD dst_unused:UNUSED_PAD src0_sel:DWORD src1_sel:BYTE_0
	v_mul_u32_u24_e32 v16, 0x3cc, v107
	v_add3_u32 v94, 0, v16, v14
	v_sub_f32_e32 v14, v79, v80
	v_mov_b32_e32 v16, v15
	v_add_f32_e32 v6, v6, v78
	v_fmac_f32_e32 v16, 0xbf5db3d7, v14
	v_fmac_f32_e32 v15, 0x3f5db3d7, v14
	v_add_f32_e32 v14, v74, v70
	ds_write2_b32 v94, v6, v16 offset1:81
	v_add_f32_e32 v6, v12, v74
	v_fma_f32 v12, -0.5, v14, v12
	ds_write_b32 v94, v15 offset:648
	v_sub_f32_e32 v14, v76, v75
	v_mov_b32_e32 v15, v12
	v_lshl_add_u32 v95, v28, 2, 0
	v_add_f32_e32 v6, v6, v70
	v_fmac_f32_e32 v15, 0xbf5db3d7, v14
	v_add_u32_e32 v96, 0xa00, v95
	v_fmac_f32_e32 v12, 0x3f5db3d7, v14
	v_add_f32_e32 v14, v56, v58
	ds_write2_b32 v96, v6, v15 offset0:89 offset1:170
	v_add_f32_e32 v6, v13, v56
	v_fmac_f32_e32 v13, -0.5, v14
	ds_write_b32 v95, v12 offset:3564
	v_mul_u32_u24_e32 v12, 0x3cc, v105
	v_lshlrev_b32_e32 v14, 2, v106
	v_add3_u32 v97, 0, v12, v14
	v_sub_f32_e32 v12, v64, v69
	v_mov_b32_e32 v14, v13
	v_add_f32_e32 v6, v6, v58
	v_fmac_f32_e32 v14, 0xbf5db3d7, v12
	v_fmac_f32_e32 v50, v53, v62
	ds_write2_b32 v97, v6, v14 offset1:81
	v_fmac_f32_e32 v13, 0x3f5db3d7, v12
	v_mul_u32_u24_e32 v6, 0x3cc, v104
	v_lshlrev_b32_e32 v12, 2, v20
	v_add3_u32 v98, 0, v6, v12
	v_add_f32_e32 v12, v51, v50
	ds_write_b32 v97, v13 offset:648
	v_fma_f32 v13, -0.5, v12, v7
	v_add_f32_e32 v6, v7, v51
	v_sub_f32_e32 v7, v55, v54
	v_mov_b32_e32 v12, v13
	v_add_f32_e32 v6, v6, v50
	v_fmac_f32_e32 v12, 0xbf5db3d7, v7
	v_fmac_f32_e32 v13, 0x3f5db3d7, v7
	v_add_f32_e32 v7, v46, v47
	ds_write2_b32 v98, v6, v12 offset1:81
	v_add_f32_e32 v6, v8, v46
	v_fmac_f32_e32 v8, -0.5, v7
	v_mov_b32_e32 v7, v8
	v_sub_f32_e32 v12, v48, v49
	v_fmac_f32_e32 v7, 0xbf5db3d7, v12
	v_fmac_f32_e32 v8, 0x3f5db3d7, v12
	v_add_f32_e32 v12, v40, v42
	v_add_f32_e32 v14, v5, v40
	v_fmac_f32_e32 v5, -0.5, v12
	v_sub_f32_e32 v15, v45, v44
	v_mov_b32_e32 v12, v5
	v_fmac_f32_e32 v12, 0xbf5db3d7, v15
	v_fmac_f32_e32 v5, 0x3f5db3d7, v15
	ds_write_b32 v98, v13 offset:648
	v_mul_u32_u24_e32 v13, 0x3cc, v101
	v_lshlrev_b32_e32 v15, 2, v102
	v_add_f32_e32 v6, v6, v47
	v_add3_u32 v99, 0, v13, v15
	v_add_f32_e32 v15, v14, v42
	v_add_u32_e32 v101, 0x1600, v100
	ds_write2_b32 v99, v6, v7 offset1:81
	ds_write_b32 v99, v8 offset:648
	ds_write2_b32 v101, v15, v12 offset0:50 offset1:131
	ds_write_b32 v100, v5 offset:6480
	s_waitcnt lgkmcnt(0)
	; wave barrier
	s_waitcnt lgkmcnt(0)
	ds_read_b32 v53, v0 offset:6336
	ds_read2_b32 v[18:19], v0 offset1:63
	ds_read2_b32 v[28:29], v0 offset0:126 offset1:243
	ds_read2_b32 v[20:21], v43 offset0:102 offset1:165
	;; [unrolled: 1-line block ×9, first 2 shown]
	v_cmp_gt_u32_e32 vcc, 54, v71
                                        ; implicit-def: $vgpr73
	s_and_saveexec_b64 s[4:5], vcc
	s_cbranch_execz .LBB0_15
; %bb.14:
	v_add_u32_e32 v6, 0xa80, v0
	v_add_u32_e32 v5, 0x2e0, v0
	ds_read2_b32 v[14:15], v6 offset0:3 offset1:246
	ds_read2_b32 v[12:13], v57 offset0:9 offset1:252
	ds_read_b32 v73, v0 offset:6588
	ds_read2_b32 v[6:7], v5 offset0:5 offset1:248
	s_waitcnt lgkmcnt(3)
	v_mov_b32_e32 v8, v14
	s_waitcnt lgkmcnt(2)
	v_mov_b32_e32 v5, v13
.LBB0_15:
	s_or_b64 exec, exec, s[4:5]
	v_add_f32_e32 v13, v38, v92
	v_add_f32_e32 v102, v13, v91
	v_add_f32_e32 v13, v92, v91
	v_fma_f32 v38, -0.5, v13, v38
	v_sub_f32_e32 v13, v90, v89
	v_mov_b32_e32 v89, v38
	v_fmac_f32_e32 v89, 0x3f5db3d7, v13
	v_fmac_f32_e32 v38, 0xbf5db3d7, v13
	v_add_f32_e32 v13, v39, v87
	v_add_f32_e32 v90, v13, v88
	v_add_f32_e32 v13, v87, v88
	v_fmac_f32_e32 v39, -0.5, v13
	v_sub_f32_e32 v13, v85, v86
	v_mov_b32_e32 v85, v39
	v_fmac_f32_e32 v85, 0x3f5db3d7, v13
	v_fmac_f32_e32 v39, 0xbf5db3d7, v13
	v_add_f32_e32 v13, v36, v84
	v_add_f32_e32 v86, v13, v83
	v_add_f32_e32 v13, v84, v83
	v_fma_f32 v36, -0.5, v13, v36
	v_sub_f32_e32 v13, v82, v81
	v_mov_b32_e32 v81, v36
	v_fmac_f32_e32 v81, 0x3f5db3d7, v13
	v_fmac_f32_e32 v36, 0xbf5db3d7, v13
	v_add_f32_e32 v13, v37, v79
	v_add_f32_e32 v82, v13, v80
	v_add_f32_e32 v13, v79, v80
	v_fmac_f32_e32 v37, -0.5, v13
	v_sub_f32_e32 v13, v77, v78
	v_mov_b32_e32 v77, v37
	v_fmac_f32_e32 v77, 0x3f5db3d7, v13
	v_fmac_f32_e32 v37, 0xbf5db3d7, v13
	;; [unrolled: 16-line block ×3, first 2 shown]
	v_add_f32_e32 v13, v10, v55
	v_add_f32_e32 v58, v13, v54
	;; [unrolled: 1-line block ×3, first 2 shown]
	v_fma_f32 v54, -0.5, v13, v10
	v_sub_f32_e32 v10, v51, v50
	v_mov_b32_e32 v50, v54
	v_fmac_f32_e32 v50, 0x3f5db3d7, v10
	v_fmac_f32_e32 v54, 0xbf5db3d7, v10
	v_add_f32_e32 v10, v11, v48
	v_add_f32_e32 v13, v10, v49
	;; [unrolled: 1-line block ×3, first 2 shown]
	v_fmac_f32_e32 v11, -0.5, v10
	v_sub_f32_e32 v10, v46, v47
	v_mov_b32_e32 v14, v11
	v_add_f32_e32 v16, v45, v44
	v_fmac_f32_e32 v14, 0x3f5db3d7, v10
	v_fmac_f32_e32 v11, 0xbf5db3d7, v10
	v_add_f32_e32 v10, v9, v45
	v_fmac_f32_e32 v9, -0.5, v16
	v_sub_f32_e32 v40, v40, v42
	v_mov_b32_e32 v16, v9
	v_add_f32_e32 v10, v10, v44
	v_fmac_f32_e32 v16, 0x3f5db3d7, v40
	v_fmac_f32_e32 v9, 0xbf5db3d7, v40
	s_waitcnt lgkmcnt(0)
	; wave barrier
	s_waitcnt lgkmcnt(0)
	ds_write2_b32 v0, v102, v89 offset1:81
	ds_write_b32 v0, v38 offset:648
	ds_write2_b32 v93, v90, v85 offset1:81
	ds_write_b32 v93, v39 offset:648
	ds_write2_b32 v17, v86, v81 offset1:81
	ds_write_b32 v17, v36 offset:648
	ds_write2_b32 v94, v82, v77 offset1:81
	ds_write_b32 v94, v37 offset:648
	ds_write2_b32 v96, v78, v70 offset0:89 offset1:170
	ds_write_b32 v95, v34 offset:3564
	ds_write2_b32 v97, v74, v56 offset1:81
	ds_write_b32 v97, v35 offset:648
	ds_write2_b32 v98, v58, v50 offset1:81
	;; [unrolled: 2-line block ×3, first 2 shown]
	ds_write_b32 v99, v11 offset:648
	ds_write2_b32 v101, v10, v16 offset0:50 offset1:131
	ds_write_b32 v100, v9 offset:6480
	s_waitcnt lgkmcnt(0)
	; wave barrier
	s_waitcnt lgkmcnt(0)
	ds_read2_b32 v[37:38], v0 offset1:63
	ds_read2_b32 v[48:49], v0 offset0:126 offset1:243
	ds_read2_b32 v[39:40], v43 offset0:102 offset1:165
	;; [unrolled: 1-line block ×9, first 2 shown]
	ds_read_b32 v34, v0 offset:6336
                                        ; implicit-def: $vgpr74
	s_and_saveexec_b64 s[4:5], vcc
	s_cbranch_execz .LBB0_17
; %bb.16:
	v_add_u32_e32 v9, 0x2e0, v0
	ds_read2_b32 v[13:14], v9 offset0:5 offset1:248
	v_add_u32_e32 v9, 0xa80, v0
	ds_read2_b32 v[9:10], v9 offset0:3 offset1:246
	;; [unrolled: 2-line block ×3, first 2 shown]
	ds_read_b32 v74, v0 offset:6588
	s_waitcnt lgkmcnt(2)
	v_mov_b32_e32 v11, v9
	s_waitcnt lgkmcnt(1)
	v_mov_b32_e32 v9, v17
.LBB0_17:
	s_or_b64 exec, exec, s[4:5]
	s_and_saveexec_b64 s[4:5], s[0:1]
	s_cbranch_execz .LBB0_20
; %bb.18:
	v_mul_u32_u24_e32 v0, 6, v52
	v_lshlrev_b32_e32 v0, 3, v0
	global_load_dwordx4 v[54:57], v0, s[8:9] offset:1920
	global_load_dwordx4 v[75:78], v0, s[8:9] offset:1952
	;; [unrolled: 1-line block ×3, first 2 shown]
	v_mul_lo_u32 v0, s3, v3
	v_mad_u64_u32 v[35:36], s[0:1], s2, v3, 0
	v_mov_b32_e32 v3, 0xfffffe86
	v_mul_lo_u32 v17, s2, v4
	v_mov_b32_e32 v4, 0
	v_mad_u32_u24 v3, v52, 6, v3
	v_lshlrev_b64 v[58:59], 3, v[3:4]
	v_mov_b32_e32 v41, s9
	v_add_co_u32_e64 v58, s[0:1], s8, v58
	v_addc_co_u32_e64 v59, s[0:1], v41, v59, s[0:1]
	global_load_dwordx4 v[83:86], v[58:59], off offset:1920
	global_load_dwordx4 v[87:90], v[58:59], off offset:1952
	;; [unrolled: 1-line block ×3, first 2 shown]
	v_add3_u32 v36, v36, v17, v0
	s_mov_b32 s2, 0x3eae86e6
	s_mov_b32 s3, 0xbf5ff5aa
	;; [unrolled: 1-line block ×5, first 2 shown]
	s_movk_i32 s6, 0xf3
	v_lshlrev_b64 v[35:36], 3, v[35:36]
	s_movk_i32 s10, 0x6a5
	s_waitcnt vmcnt(5) lgkmcnt(3)
	v_mul_f32_e32 v0, v70, v55
	s_waitcnt vmcnt(4) lgkmcnt(0)
	v_mul_f32_e32 v3, v34, v78
	s_waitcnt vmcnt(3)
	v_mul_f32_e32 v17, v42, v82
	v_mul_f32_e32 v41, v68, v80
	;; [unrolled: 1-line block ×10, first 2 shown]
	v_fmac_f32_e32 v0, v63, v54
	v_fmac_f32_e32 v3, v53, v77
	v_fmac_f32_e32 v17, v22, v81
	v_fmac_f32_e32 v41, v61, v79
	v_fmac_f32_e32 v52, v26, v56
	v_fmac_f32_e32 v58, v33, v75
	v_fma_f32 v22, v34, v77, -v59
	v_fma_f32 v26, v70, v54, -v55
	;; [unrolled: 1-line block ×6, first 2 shown]
	v_sub_f32_e32 v54, v0, v3
	v_sub_f32_e32 v53, v17, v41
	v_sub_f32_e32 v55, v52, v58
	v_add_f32_e32 v56, v26, v22
	v_add_f32_e32 v59, v46, v42
	v_add_f32_e32 v57, v34, v33
	v_add_f32_e32 v0, v0, v3
	v_add_f32_e32 v3, v17, v41
	v_add_f32_e32 v17, v52, v58
	v_sub_f32_e32 v22, v26, v22
	v_sub_f32_e32 v26, v34, v33
	;; [unrolled: 1-line block ×5, first 2 shown]
	v_add_f32_e32 v34, v53, v55
	v_add_f32_e32 v53, v56, v59
	;; [unrolled: 1-line block ×3, first 2 shown]
	v_mul_f32_e32 v66, 0x3f08b237, v33
	v_add_f32_e32 v33, v57, v53
	v_sub_f32_e32 v52, v57, v59
	v_sub_f32_e32 v58, v0, v3
	;; [unrolled: 1-line block ×3, first 2 shown]
	v_add_f32_e32 v3, v3, v63
	v_add_f32_e32 v53, v48, v33
	v_mul_f32_e32 v75, 0x3d64c772, v52
	v_mul_f32_e32 v61, 0x3d64c772, v61
	v_add_f32_e32 v52, v28, v3
	v_mov_b32_e32 v28, v53
	v_sub_f32_e32 v64, v22, v26
	v_add_f32_e32 v68, v54, v34
	v_mov_b32_e32 v48, v61
	v_fmac_f32_e32 v28, 0xbf955555, v33
	v_sub_f32_e32 v33, v26, v41
	v_add_f32_e32 v26, v26, v41
	v_sub_f32_e32 v54, v55, v54
	v_sub_f32_e32 v46, v56, v57
	v_mul_f32_e32 v57, 0x3f4a47b2, v58
	v_mov_b32_e32 v34, v75
	v_fmac_f32_e32 v48, 0x3f4a47b2, v58
	v_mul_f32_e32 v58, 0x3f08b237, v33
	v_add_f32_e32 v26, v22, v26
	v_mul_f32_e32 v55, 0xbf5ff5aa, v54
	v_sub_f32_e32 v22, v41, v22
	v_mul_f32_e32 v70, 0x3f4a47b2, v46
	v_mov_b32_e32 v63, v66
	v_fmac_f32_e32 v34, 0x3f4a47b2, v46
	v_mov_b32_e32 v46, v52
	v_mov_b32_e32 v76, v58
	v_fma_f32 v77, v42, s2, -v55
	v_sub_f32_e32 v55, v59, v56
	v_sub_f32_e32 v0, v17, v0
	v_mul_f32_e32 v41, 0xbf5ff5aa, v22
	v_fmac_f32_e32 v63, 0xbeae86e6, v42
	v_fmac_f32_e32 v46, 0xbf955555, v3
	;; [unrolled: 1-line block ×3, first 2 shown]
	v_fma_f32 v42, v55, s4, -v70
	v_fma_f32 v17, v0, s4, -v57
	;; [unrolled: 1-line block ×7, first 2 shown]
	v_fmac_f32_e32 v63, 0xbee1c552, v68
	v_add_f32_e32 v3, v34, v28
	v_add_f32_e32 v59, v42, v28
	;; [unrolled: 1-line block ×3, first 2 shown]
	v_fmac_f32_e32 v64, 0xbee1c552, v26
	v_add_f32_e32 v28, v55, v28
	v_fmac_f32_e32 v56, 0xbee1c552, v68
	v_fmac_f32_e32 v22, 0xbee1c552, v26
	v_add_f32_e32 v0, v0, v46
	v_add_f32_e32 v48, v48, v46
	;; [unrolled: 1-line block ×3, first 2 shown]
	v_sub_f32_e32 v41, v17, v64
	v_sub_f32_e32 v55, v28, v56
	v_add_f32_e32 v54, v22, v0
	v_add_f32_e32 v57, v56, v28
	v_sub_f32_e32 v56, v0, v22
	v_add_f32_e32 v58, v64, v17
	v_sub_f32_e32 v64, v3, v63
	s_waitcnt vmcnt(2)
	v_mul_f32_e32 v0, v69, v84
	s_waitcnt vmcnt(1)
	v_mul_f32_e32 v3, v51, v90
	;; [unrolled: 2-line block ×3, first 2 shown]
	v_mul_f32_e32 v46, v67, v92
	v_mul_f32_e32 v61, v40, v86
	;; [unrolled: 1-line block ×3, first 2 shown]
	v_fmac_f32_e32 v0, v62, v83
	v_fmac_f32_e32 v3, v31, v89
	;; [unrolled: 1-line block ×7, first 2 shown]
	v_sub_f32_e32 v17, v0, v3
	v_sub_f32_e32 v22, v28, v46
	;; [unrolled: 1-line block ×4, first 2 shown]
	v_add_f32_e32 v63, v76, v48
	v_sub_f32_e32 v48, v17, v22
	v_sub_f32_e32 v26, v22, v95
	v_add_f32_e32 v22, v22, v95
	v_add_f32_e32 v98, v17, v22
	v_mul_f32_e32 v22, v31, v90
	v_mul_f32_e32 v96, 0x3f08b237, v26
	v_fma_f32 v31, v51, v89, -v22
	v_mul_f32_e32 v22, v62, v84
	v_mul_u32_u24_e32 v26, 6, v71
	v_fmac_f32_e32 v77, 0xbee1c552, v68
	v_fma_f32 v51, v69, v83, -v22
	v_mul_f32_e32 v22, v60, v92
	v_lshlrev_b32_e32 v26, 3, v26
	v_add_f32_e32 v42, v77, v59
	v_sub_f32_e32 v59, v59, v77
	v_fma_f32 v60, v67, v91, -v22
	global_load_dwordx4 v[66:69], v26, s[8:9] offset:1920
	global_load_dwordx4 v[79:82], v26, s[8:9] offset:1936
	global_load_dwordx4 v[75:78], v26, s[8:9] offset:1952
	v_mul_f32_e32 v22, v25, v94
	v_mul_f32_e32 v32, v32, v88
	;; [unrolled: 1-line block ×3, first 2 shown]
	v_fma_f32 v25, v45, v93, -v22
	v_fma_f32 v32, v65, v87, -v32
	;; [unrolled: 1-line block ×3, first 2 shown]
	v_add_f32_e32 v22, v25, v60
	v_add_f32_e32 v65, v40, v32
	;; [unrolled: 1-line block ×3, first 2 shown]
	v_sub_f32_e32 v21, v22, v65
	v_mul_f32_e32 v84, 0x3d64c772, v21
	v_add_f32_e32 v26, v62, v65
	v_sub_f32_e32 v45, v62, v22
	v_mov_b32_e32 v21, v84
	v_add_f32_e32 v26, v22, v26
	v_mul_f32_e32 v83, 0x3f4a47b2, v45
	v_fmac_f32_e32 v21, 0x3f4a47b2, v45
	v_add_f32_e32 v22, v38, v26
	v_add_f32_e32 v0, v0, v3
	;; [unrolled: 1-line block ×4, first 2 shown]
	v_mov_b32_e32 v38, v22
	v_sub_f32_e32 v46, v3, v45
	v_fmac_f32_e32 v38, 0xbf955555, v26
	v_mul_f32_e32 v61, 0x3d64c772, v46
	v_add_f32_e32 v85, v21, v38
	v_sub_f32_e32 v21, v0, v3
	v_mov_b32_e32 v46, v61
	v_mul_f32_e32 v28, 0x3f4a47b2, v21
	v_fmac_f32_e32 v46, 0x3f4a47b2, v21
	v_add_f32_e32 v21, v0, v45
	v_add_f32_e32 v3, v3, v21
	;; [unrolled: 1-line block ×3, first 2 shown]
	v_mov_b32_e32 v19, v21
	v_sub_f32_e32 v25, v25, v60
	v_sub_f32_e32 v40, v40, v32
	v_fmac_f32_e32 v19, 0xbf955555, v3
	v_sub_f32_e32 v31, v51, v31
	v_sub_f32_e32 v32, v25, v40
	v_add_f32_e32 v3, v46, v19
	v_sub_f32_e32 v46, v31, v25
	v_mul_f32_e32 v51, 0x3f08b237, v32
	v_add_f32_e32 v25, v25, v40
	v_sub_f32_e32 v17, v95, v17
	v_sub_f32_e32 v40, v40, v31
	v_mov_b32_e32 v97, v96
	v_mov_b32_e32 v70, v51
	v_add_f32_e32 v60, v31, v25
	v_mul_f32_e32 v32, 0xbf5ff5aa, v17
	v_sub_f32_e32 v62, v65, v62
	v_sub_f32_e32 v0, v45, v0
	v_mul_f32_e32 v31, 0xbf5ff5aa, v40
	v_fmac_f32_e32 v97, 0xbeae86e6, v48
	v_fmac_f32_e32 v70, 0xbeae86e6, v46
	v_fma_f32 v48, v48, s2, -v32
	v_fma_f32 v32, v62, s4, -v83
	v_fma_f32 v28, v0, s4, -v28
	v_fma_f32 v83, v46, s2, -v31
	v_fma_f32 v45, v62, s5, -v84
	v_fma_f32 v17, v17, s3, -v96
	v_fma_f32 v40, v40, s3, -v51
	v_fma_f32 v0, v0, s5, -v61
	v_fmac_f32_e32 v97, 0xbee1c552, v98
	v_fmac_f32_e32 v70, 0xbee1c552, v60
	;; [unrolled: 1-line block ×3, first 2 shown]
	v_add_f32_e32 v65, v32, v38
	v_add_f32_e32 v28, v28, v19
	v_fmac_f32_e32 v83, 0xbee1c552, v60
	v_add_f32_e32 v38, v45, v38
	v_fmac_f32_e32 v17, 0xbee1c552, v98
	v_fmac_f32_e32 v40, 0xbee1c552, v60
	v_add_f32_e32 v0, v0, v19
	v_add_f32_e32 v26, v97, v85
	v_sub_f32_e32 v25, v3, v70
	v_add_f32_e32 v32, v48, v65
	v_sub_f32_e32 v31, v28, v83
	v_sub_f32_e32 v46, v38, v17
	v_add_f32_e32 v45, v40, v0
	v_add_f32_e32 v61, v17, v38
	v_sub_f32_e32 v60, v0, v40
	v_sub_f32_e32 v84, v65, v48
	v_add_f32_e32 v83, v83, v28
	v_sub_f32_e32 v86, v85, v97
	v_add_f32_e32 v85, v70, v3
	s_waitcnt vmcnt(2)
	v_mul_f32_e32 v0, v49, v67
	s_waitcnt vmcnt(0)
	v_mul_f32_e32 v3, v50, v78
	v_mul_f32_e32 v28, v44, v82
	;; [unrolled: 1-line block ×5, first 2 shown]
	v_fmac_f32_e32 v0, v29, v66
	v_fmac_f32_e32 v3, v30, v77
	;; [unrolled: 1-line block ×6, first 2 shown]
	v_sub_f32_e32 v17, v0, v3
	v_sub_f32_e32 v19, v28, v38
	;; [unrolled: 1-line block ×5, first 2 shown]
	v_add_f32_e32 v19, v19, v62
	v_add_f32_e32 v87, v17, v19
	v_mul_f32_e32 v19, v30, v78
	v_fma_f32 v30, v50, v77, -v19
	v_mul_f32_e32 v19, v29, v67
	v_fma_f32 v29, v49, v66, -v19
	;; [unrolled: 2-line block ×3, first 2 shown]
	v_mul_f32_e32 v19, v24, v82
	v_mul_f32_e32 v23, v23, v76
	;; [unrolled: 1-line block ×3, first 2 shown]
	v_fma_f32 v44, v44, v81, -v19
	v_fma_f32 v23, v43, v75, -v23
	;; [unrolled: 1-line block ×3, first 2 shown]
	v_add_f32_e32 v19, v44, v27
	v_add_f32_e32 v39, v20, v23
	v_sub_f32_e32 v43, v19, v39
	v_add_f32_e32 v0, v0, v3
	v_add_f32_e32 v3, v28, v38
	v_add_f32_e32 v48, v48, v51
	v_add_f32_e32 v49, v29, v30
	v_mul_f32_e32 v43, 0x3d64c772, v43
	v_sub_f32_e32 v51, v3, v48
	v_sub_f32_e32 v24, v49, v19
	v_mov_b32_e32 v50, v43
	v_mul_f32_e32 v51, 0x3d64c772, v51
	v_mul_f32_e32 v47, 0x3f4a47b2, v24
	v_fmac_f32_e32 v50, 0x3f4a47b2, v24
	v_add_f32_e32 v24, v49, v39
	v_sub_f32_e32 v28, v0, v3
	v_mov_b32_e32 v66, v51
	v_add_f32_e32 v24, v19, v24
	v_mul_f32_e32 v38, 0x3f4a47b2, v28
	v_fmac_f32_e32 v66, 0x3f4a47b2, v28
	v_add_f32_e32 v28, v0, v48
	v_sub_f32_e32 v27, v44, v27
	v_sub_f32_e32 v20, v20, v23
	v_mul_f32_e32 v65, 0x3f08b237, v65
	v_add_f32_e32 v19, v37, v24
	v_add_f32_e32 v3, v3, v28
	v_sub_f32_e32 v29, v29, v30
	v_sub_f32_e32 v23, v27, v20
	;; [unrolled: 1-line block ×3, first 2 shown]
	v_mov_b32_e32 v70, v65
	v_mov_b32_e32 v37, v19
	v_add_f32_e32 v18, v18, v3
	v_sub_f32_e32 v30, v29, v27
	v_mul_f32_e32 v44, 0x3f08b237, v23
	v_add_f32_e32 v23, v27, v20
	v_mul_f32_e32 v27, 0xbf5ff5aa, v17
	v_sub_f32_e32 v39, v39, v49
	v_fmac_f32_e32 v70, 0xbeae86e6, v40
	v_fmac_f32_e32 v37, 0xbf955555, v24
	v_mov_b32_e32 v67, v18
	v_add_f32_e32 v68, v29, v23
	v_fma_f32 v40, v40, s2, -v27
	v_fma_f32 v27, v39, s4, -v47
	v_sub_f32_e32 v0, v48, v0
	v_sub_f32_e32 v20, v20, v29
	v_fma_f32 v29, v39, s5, -v43
	v_mul_hi_u32 v39, v71, s7
	v_fmac_f32_e32 v67, 0xbf955555, v3
	v_add_f32_e32 v47, v27, v37
	v_fma_f32 v27, v0, s4, -v38
	v_add_f32_e32 v48, v27, v67
	v_mul_f32_e32 v27, 0xbf5ff5aa, v20
	v_fma_f32 v17, v17, s3, -v65
	v_fma_f32 v20, v20, s3, -v44
	;; [unrolled: 1-line block ×3, first 2 shown]
	v_add_f32_e32 v50, v50, v37
	v_add_f32_e32 v3, v66, v67
	v_mov_b32_e32 v66, v44
	v_add_f32_e32 v37, v29, v37
	v_fmac_f32_e32 v17, 0xbee1c552, v87
	v_fmac_f32_e32 v20, 0xbee1c552, v68
	v_add_f32_e32 v0, v0, v67
	v_fmac_f32_e32 v66, 0xbeae86e6, v30
	v_fma_f32 v49, v30, s2, -v27
	v_sub_f32_e32 v30, v37, v17
	v_add_f32_e32 v29, v20, v0
	v_add_f32_e32 v38, v17, v37
	v_sub_f32_e32 v37, v0, v20
	v_lshrrev_b32_e32 v0, 7, v39
	v_mul_lo_u32 v0, v0, s6
	v_fmac_f32_e32 v66, 0xbee1c552, v68
	v_sub_f32_e32 v23, v3, v66
	v_add_f32_e32 v43, v66, v3
	v_sub_u32_e32 v3, v71, v0
	v_mov_b32_e32 v0, s15
	v_add_co_u32_e64 v17, s[0:1], s14, v35
	v_addc_co_u32_e64 v20, s[0:1], v0, v36, s[0:1]
	v_lshlrev_b64 v[0:1], 3, v[1:2]
	v_fmac_f32_e32 v70, 0xbee1c552, v87
	v_add_co_u32_e64 v2, s[0:1], v17, v0
	v_addc_co_u32_e64 v17, s[0:1], v20, v1, s[0:1]
	v_lshlrev_b32_e32 v0, 3, v3
	v_add_co_u32_e64 v0, s[0:1], v2, v0
	v_add_u32_e32 v3, 63, v71
	v_addc_co_u32_e64 v1, s[0:1], 0, v17, s[0:1]
	v_mul_hi_u32 v20, v3, s7
	v_fmac_f32_e32 v40, 0xbee1c552, v87
	v_fmac_f32_e32 v49, 0xbee1c552, v68
	s_movk_i32 s0, 0x1000
	v_add_f32_e32 v28, v40, v47
	v_sub_f32_e32 v40, v47, v40
	v_add_f32_e32 v39, v49, v48
	v_sub_f32_e32 v44, v50, v70
	global_store_dwordx2 v[0:1], v[18:19], off
	global_store_dwordx2 v[0:1], v[43:44], off offset:1944
	global_store_dwordx2 v[0:1], v[39:40], off offset:3888
	v_add_co_u32_e64 v18, s[0:1], s0, v0
	v_addc_co_u32_e64 v19, s[0:1], 0, v1, s[0:1]
	global_store_dwordx2 v[18:19], v[37:38], off offset:1736
	global_store_dwordx2 v[18:19], v[29:30], off offset:3680
	v_lshrrev_b32_e32 v18, 7, v20
	v_mul_lo_u32 v19, v18, s6
	s_movk_i32 s0, 0x2000
	v_add_co_u32_e64 v0, s[0:1], s0, v0
	v_sub_u32_e32 v3, v3, v19
	v_addc_co_u32_e64 v1, s[0:1], 0, v1, s[0:1]
	v_mad_u64_u32 v[18:19], s[0:1], v18, s10, v[3:4]
	v_sub_f32_e32 v27, v48, v49
	v_mov_b32_e32 v19, v4
	v_add_f32_e32 v24, v70, v50
	global_store_dwordx2 v[0:1], v[27:28], off offset:1528
	global_store_dwordx2 v[0:1], v[23:24], off offset:3472
	v_lshlrev_b64 v[0:1], 3, v[18:19]
	v_add_u32_e32 v3, 0xf3, v18
	v_add_co_u32_e64 v0, s[0:1], v2, v0
	v_addc_co_u32_e64 v1, s[0:1], v17, v1, s[0:1]
	global_store_dwordx2 v[0:1], v[21:22], off
	v_lshlrev_b64 v[0:1], 3, v[3:4]
	v_add_u32_e32 v3, 0x1e6, v18
	v_add_co_u32_e64 v0, s[0:1], v2, v0
	v_addc_co_u32_e64 v1, s[0:1], v17, v1, s[0:1]
	global_store_dwordx2 v[0:1], v[85:86], off
	;; [unrolled: 5-line block ×4, first 2 shown]
	v_lshlrev_b64 v[0:1], 3, v[3:4]
	v_add_u32_e32 v3, 0x4bf, v18
	v_add_co_u32_e64 v0, s[0:1], v2, v0
	v_addc_co_u32_e64 v1, s[0:1], v17, v1, s[0:1]
	v_add_u32_e32 v19, 0x7e, v71
	global_store_dwordx2 v[0:1], v[45:46], off
	v_lshlrev_b64 v[0:1], 3, v[3:4]
	v_mul_hi_u32 v3, v19, s7
	v_add_co_u32_e64 v0, s[0:1], v2, v0
	v_addc_co_u32_e64 v1, s[0:1], v17, v1, s[0:1]
	v_lshrrev_b32_e32 v20, 7, v3
	v_mul_lo_u32 v21, v20, s6
	v_add_u32_e32 v3, 0x5b2, v18
	global_store_dwordx2 v[0:1], v[31:32], off
	v_lshlrev_b64 v[0:1], 3, v[3:4]
	v_sub_u32_e32 v3, v19, v21
	v_mad_u64_u32 v[18:19], s[0:1], v20, s10, v[3:4]
	v_add_co_u32_e64 v0, s[0:1], v2, v0
	v_addc_co_u32_e64 v1, s[0:1], v17, v1, s[0:1]
	v_mov_b32_e32 v19, v4
	global_store_dwordx2 v[0:1], v[25:26], off
	v_lshlrev_b64 v[0:1], 3, v[18:19]
	v_add_u32_e32 v3, 0xf3, v18
	v_add_co_u32_e64 v0, s[0:1], v2, v0
	v_addc_co_u32_e64 v1, s[0:1], v17, v1, s[0:1]
	global_store_dwordx2 v[0:1], v[52:53], off
	v_lshlrev_b64 v[0:1], 3, v[3:4]
	v_add_u32_e32 v3, 0x1e6, v18
	v_add_co_u32_e64 v0, s[0:1], v2, v0
	v_addc_co_u32_e64 v1, s[0:1], v17, v1, s[0:1]
	;; [unrolled: 5-line block ×6, first 2 shown]
	global_store_dwordx2 v[0:1], v[41:42], off
	v_lshlrev_b64 v[0:1], 3, v[3:4]
	v_add_co_u32_e64 v0, s[0:1], v2, v0
	v_addc_co_u32_e64 v1, s[0:1], v17, v1, s[0:1]
	global_store_dwordx2 v[0:1], v[33:34], off
	v_add_u32_e32 v0, 0xbd, v71
	v_cmp_gt_u32_e64 s[0:1], s6, v0
	s_and_b64 exec, exec, s[0:1]
	s_cbranch_execz .LBB0_20
; %bb.19:
	v_subrev_u32_e32 v1, 54, v71
	v_cndmask_b32_e32 v1, v1, v72, vcc
	v_mul_i32_i24_e32 v3, 6, v1
	v_lshlrev_b64 v[18:19], 3, v[3:4]
	v_mov_b32_e32 v1, s9
	v_add_co_u32_e32 v30, vcc, s8, v18
	v_addc_co_u32_e32 v31, vcc, v1, v19, vcc
	global_load_dwordx4 v[18:21], v[30:31], off offset:1920
	global_load_dwordx4 v[22:25], v[30:31], off offset:1936
	;; [unrolled: 1-line block ×3, first 2 shown]
	s_waitcnt vmcnt(2)
	v_mul_f32_e32 v1, v14, v19
	v_mul_f32_e32 v3, v7, v19
	v_mul_f32_e32 v19, v11, v21
	v_mul_f32_e32 v21, v8, v21
	s_waitcnt vmcnt(1)
	v_mul_f32_e32 v30, v10, v23
	v_mul_f32_e32 v23, v15, v23
	v_mul_f32_e32 v31, v16, v25
	v_mul_f32_e32 v25, v12, v25
	;; [unrolled: 5-line block ×3, first 2 shown]
	v_fmac_f32_e32 v1, v7, v18
	v_fma_f32 v3, v14, v18, -v3
	v_fmac_f32_e32 v19, v8, v20
	v_fma_f32 v7, v11, v20, -v21
	;; [unrolled: 2-line block ×6, first 2 shown]
	v_add_f32_e32 v11, v1, v33
	v_add_f32_e32 v12, v3, v9
	v_sub_f32_e32 v1, v1, v33
	v_sub_f32_e32 v3, v3, v9
	v_add_f32_e32 v9, v19, v32
	v_add_f32_e32 v14, v7, v5
	v_sub_f32_e32 v15, v19, v32
	v_sub_f32_e32 v5, v7, v5
	;; [unrolled: 4-line block ×4, first 2 shown]
	v_sub_f32_e32 v11, v11, v7
	v_sub_f32_e32 v12, v12, v16
	;; [unrolled: 1-line block ×4, first 2 shown]
	v_add_f32_e32 v22, v18, v15
	v_sub_f32_e32 v24, v18, v15
	v_sub_f32_e32 v15, v15, v1
	;; [unrolled: 1-line block ×3, first 2 shown]
	v_add_f32_e32 v7, v7, v10
	v_add_f32_e32 v10, v16, v19
	;; [unrolled: 1-line block ×3, first 2 shown]
	v_mul_f32_e32 v11, 0x3f4a47b2, v11
	v_mul_f32_e32 v12, 0x3f4a47b2, v12
	;; [unrolled: 1-line block ×6, first 2 shown]
	v_add_f32_e32 v23, v8, v5
	v_sub_f32_e32 v25, v8, v5
	v_sub_f32_e32 v26, v5, v3
	v_add_f32_e32 v5, v6, v7
	v_add_f32_e32 v6, v13, v10
	v_fma_f32 v13, v20, s5, -v16
	v_fma_f32 v16, v21, s5, -v19
	;; [unrolled: 1-line block ×3, first 2 shown]
	v_fmac_f32_e32 v11, 0x3d64c772, v9
	v_fma_f32 v9, v21, s4, -v12
	v_fmac_f32_e32 v12, 0x3d64c772, v14
	v_fma_f32 v14, v15, s3, -v22
	;; [unrolled: 2-line block ×3, first 2 shown]
	v_fmac_f32_e32 v22, 0xbee1c552, v1
	v_fmac_f32_e32 v14, 0xbee1c552, v1
	;; [unrolled: 1-line block ×3, first 2 shown]
	v_mov_b32_e32 v1, v4
	v_lshlrev_b64 v[0:1], 3, v[0:1]
	v_sub_f32_e32 v8, v3, v8
	v_add_f32_e32 v3, v23, v3
	v_mul_f32_e32 v23, 0x3f08b237, v25
	v_mul_f32_e32 v25, 0xbf5ff5aa, v26
	v_fma_f32 v15, v26, s3, -v23
	v_fmac_f32_e32 v23, 0xbeae86e6, v8
	v_fma_f32 v20, v8, s2, -v25
	v_add_co_u32_e32 v0, vcc, v2, v0
	v_fmac_f32_e32 v23, 0xbee1c552, v3
	v_fmac_f32_e32 v15, 0xbee1c552, v3
	;; [unrolled: 1-line block ×3, first 2 shown]
	v_addc_co_u32_e32 v1, vcc, v17, v1, vcc
	v_add_u32_e32 v3, 0x1b0, v71
	v_mov_b32_e32 v8, v5
	v_mov_b32_e32 v21, v6
	global_store_dwordx2 v[0:1], v[5:6], off
	v_lshlrev_b64 v[0:1], 3, v[3:4]
	v_fmac_f32_e32 v8, 0xbf955555, v7
	v_fmac_f32_e32 v21, 0xbf955555, v10
	v_add_f32_e32 v24, v11, v8
	v_add_f32_e32 v25, v12, v21
	v_add_co_u32_e32 v0, vcc, v2, v0
	v_add_f32_e32 v13, v13, v8
	v_add_f32_e32 v19, v19, v8
	;; [unrolled: 1-line block ×3, first 2 shown]
	v_sub_f32_e32 v8, v25, v22
	v_addc_co_u32_e32 v1, vcc, v17, v1, vcc
	v_add_u32_e32 v3, 0x2a3, v71
	global_store_dwordx2 v[0:1], v[7:8], off
	v_lshlrev_b64 v[0:1], 3, v[3:4]
	v_add_f32_e32 v16, v16, v21
	v_add_f32_e32 v21, v9, v21
	v_add_co_u32_e32 v0, vcc, v2, v0
	v_add_f32_e32 v9, v20, v19
	v_sub_f32_e32 v10, v21, v18
	v_addc_co_u32_e32 v1, vcc, v17, v1, vcc
	v_add_u32_e32 v3, 0x396, v71
	global_store_dwordx2 v[0:1], v[9:10], off
	v_lshlrev_b64 v[0:1], 3, v[3:4]
	v_sub_f32_e32 v11, v13, v15
	v_add_co_u32_e32 v0, vcc, v2, v0
	v_add_f32_e32 v12, v14, v16
	v_addc_co_u32_e32 v1, vcc, v17, v1, vcc
	v_add_u32_e32 v3, 0x489, v71
	global_store_dwordx2 v[0:1], v[11:12], off
	v_lshlrev_b64 v[0:1], 3, v[3:4]
	v_add_f32_e32 v13, v15, v13
	v_add_co_u32_e32 v0, vcc, v2, v0
	v_sub_f32_e32 v14, v16, v14
	v_addc_co_u32_e32 v1, vcc, v17, v1, vcc
	v_add_u32_e32 v3, 0x57c, v71
	global_store_dwordx2 v[0:1], v[13:14], off
	v_lshlrev_b64 v[0:1], 3, v[3:4]
	v_sub_f32_e32 v15, v19, v20
	v_add_co_u32_e32 v0, vcc, v2, v0
	v_add_f32_e32 v16, v18, v21
	v_addc_co_u32_e32 v1, vcc, v17, v1, vcc
	v_add_u32_e32 v3, 0x66f, v71
	global_store_dwordx2 v[0:1], v[15:16], off
	v_lshlrev_b64 v[0:1], 3, v[3:4]
	v_sub_f32_e32 v18, v24, v23
	v_add_co_u32_e32 v0, vcc, v2, v0
	v_add_f32_e32 v19, v22, v25
	v_addc_co_u32_e32 v1, vcc, v17, v1, vcc
	global_store_dwordx2 v[0:1], v[18:19], off
.LBB0_20:
	s_endpgm
	.section	.rodata,"a",@progbits
	.p2align	6, 0x0
	.amdhsa_kernel fft_rtc_back_len1701_factors_3_3_3_3_3_7_wgs_63_tpt_63_halfLds_sp_op_CI_CI_unitstride_sbrr_dirReg
		.amdhsa_group_segment_fixed_size 0
		.amdhsa_private_segment_fixed_size 0
		.amdhsa_kernarg_size 104
		.amdhsa_user_sgpr_count 6
		.amdhsa_user_sgpr_private_segment_buffer 1
		.amdhsa_user_sgpr_dispatch_ptr 0
		.amdhsa_user_sgpr_queue_ptr 0
		.amdhsa_user_sgpr_kernarg_segment_ptr 1
		.amdhsa_user_sgpr_dispatch_id 0
		.amdhsa_user_sgpr_flat_scratch_init 0
		.amdhsa_user_sgpr_private_segment_size 0
		.amdhsa_uses_dynamic_stack 0
		.amdhsa_system_sgpr_private_segment_wavefront_offset 0
		.amdhsa_system_sgpr_workgroup_id_x 1
		.amdhsa_system_sgpr_workgroup_id_y 0
		.amdhsa_system_sgpr_workgroup_id_z 0
		.amdhsa_system_sgpr_workgroup_info 0
		.amdhsa_system_vgpr_workitem_id 0
		.amdhsa_next_free_vgpr 119
		.amdhsa_next_free_sgpr 28
		.amdhsa_reserve_vcc 1
		.amdhsa_reserve_flat_scratch 0
		.amdhsa_float_round_mode_32 0
		.amdhsa_float_round_mode_16_64 0
		.amdhsa_float_denorm_mode_32 3
		.amdhsa_float_denorm_mode_16_64 3
		.amdhsa_dx10_clamp 1
		.amdhsa_ieee_mode 1
		.amdhsa_fp16_overflow 0
		.amdhsa_exception_fp_ieee_invalid_op 0
		.amdhsa_exception_fp_denorm_src 0
		.amdhsa_exception_fp_ieee_div_zero 0
		.amdhsa_exception_fp_ieee_overflow 0
		.amdhsa_exception_fp_ieee_underflow 0
		.amdhsa_exception_fp_ieee_inexact 0
		.amdhsa_exception_int_div_zero 0
	.end_amdhsa_kernel
	.text
.Lfunc_end0:
	.size	fft_rtc_back_len1701_factors_3_3_3_3_3_7_wgs_63_tpt_63_halfLds_sp_op_CI_CI_unitstride_sbrr_dirReg, .Lfunc_end0-fft_rtc_back_len1701_factors_3_3_3_3_3_7_wgs_63_tpt_63_halfLds_sp_op_CI_CI_unitstride_sbrr_dirReg
                                        ; -- End function
	.section	.AMDGPU.csdata,"",@progbits
; Kernel info:
; codeLenInByte = 15840
; NumSgprs: 32
; NumVgprs: 119
; ScratchSize: 0
; MemoryBound: 0
; FloatMode: 240
; IeeeMode: 1
; LDSByteSize: 0 bytes/workgroup (compile time only)
; SGPRBlocks: 3
; VGPRBlocks: 29
; NumSGPRsForWavesPerEU: 32
; NumVGPRsForWavesPerEU: 119
; Occupancy: 2
; WaveLimiterHint : 1
; COMPUTE_PGM_RSRC2:SCRATCH_EN: 0
; COMPUTE_PGM_RSRC2:USER_SGPR: 6
; COMPUTE_PGM_RSRC2:TRAP_HANDLER: 0
; COMPUTE_PGM_RSRC2:TGID_X_EN: 1
; COMPUTE_PGM_RSRC2:TGID_Y_EN: 0
; COMPUTE_PGM_RSRC2:TGID_Z_EN: 0
; COMPUTE_PGM_RSRC2:TIDIG_COMP_CNT: 0
	.type	__hip_cuid_56112a2275a98fef,@object ; @__hip_cuid_56112a2275a98fef
	.section	.bss,"aw",@nobits
	.globl	__hip_cuid_56112a2275a98fef
__hip_cuid_56112a2275a98fef:
	.byte	0                               ; 0x0
	.size	__hip_cuid_56112a2275a98fef, 1

	.ident	"AMD clang version 19.0.0git (https://github.com/RadeonOpenCompute/llvm-project roc-6.4.0 25133 c7fe45cf4b819c5991fe208aaa96edf142730f1d)"
	.section	".note.GNU-stack","",@progbits
	.addrsig
	.addrsig_sym __hip_cuid_56112a2275a98fef
	.amdgpu_metadata
---
amdhsa.kernels:
  - .args:
      - .actual_access:  read_only
        .address_space:  global
        .offset:         0
        .size:           8
        .value_kind:     global_buffer
      - .offset:         8
        .size:           8
        .value_kind:     by_value
      - .actual_access:  read_only
        .address_space:  global
        .offset:         16
        .size:           8
        .value_kind:     global_buffer
      - .actual_access:  read_only
        .address_space:  global
        .offset:         24
        .size:           8
        .value_kind:     global_buffer
      - .actual_access:  read_only
        .address_space:  global
        .offset:         32
        .size:           8
        .value_kind:     global_buffer
      - .offset:         40
        .size:           8
        .value_kind:     by_value
      - .actual_access:  read_only
        .address_space:  global
        .offset:         48
        .size:           8
        .value_kind:     global_buffer
      - .actual_access:  read_only
        .address_space:  global
        .offset:         56
        .size:           8
        .value_kind:     global_buffer
      - .offset:         64
        .size:           4
        .value_kind:     by_value
      - .actual_access:  read_only
        .address_space:  global
        .offset:         72
        .size:           8
        .value_kind:     global_buffer
      - .actual_access:  read_only
        .address_space:  global
        .offset:         80
        .size:           8
        .value_kind:     global_buffer
      - .actual_access:  read_only
        .address_space:  global
        .offset:         88
        .size:           8
        .value_kind:     global_buffer
      - .actual_access:  write_only
        .address_space:  global
        .offset:         96
        .size:           8
        .value_kind:     global_buffer
    .group_segment_fixed_size: 0
    .kernarg_segment_align: 8
    .kernarg_segment_size: 104
    .language:       OpenCL C
    .language_version:
      - 2
      - 0
    .max_flat_workgroup_size: 63
    .name:           fft_rtc_back_len1701_factors_3_3_3_3_3_7_wgs_63_tpt_63_halfLds_sp_op_CI_CI_unitstride_sbrr_dirReg
    .private_segment_fixed_size: 0
    .sgpr_count:     32
    .sgpr_spill_count: 0
    .symbol:         fft_rtc_back_len1701_factors_3_3_3_3_3_7_wgs_63_tpt_63_halfLds_sp_op_CI_CI_unitstride_sbrr_dirReg.kd
    .uniform_work_group_size: 1
    .uses_dynamic_stack: false
    .vgpr_count:     119
    .vgpr_spill_count: 0
    .wavefront_size: 64
amdhsa.target:   amdgcn-amd-amdhsa--gfx906
amdhsa.version:
  - 1
  - 2
...

	.end_amdgpu_metadata
